;; amdgpu-corpus repo=ROCm/rccl kind=compiled arch=gfx950 opt=O3
	.amdgcn_target "amdgcn-amd-amdhsa--gfx950"
	.amdhsa_code_object_version 6
	.text
	.protected	_Z23ncclDevKernel_Generic_124ncclDevKernelArgsStorageILm4096EE ; -- Begin function _Z23ncclDevKernel_Generic_124ncclDevKernelArgsStorageILm4096EE
	.globl	_Z23ncclDevKernel_Generic_124ncclDevKernelArgsStorageILm4096EE
	.p2align	8
	.type	_Z23ncclDevKernel_Generic_124ncclDevKernelArgsStorageILm4096EE,@function
_Z23ncclDevKernel_Generic_124ncclDevKernelArgsStorageILm4096EE: ; @_Z23ncclDevKernel_Generic_124ncclDevKernelArgsStorageILm4096EE
; %bb.0:
	v_mov_b32_e32 v40, v0
	v_and_b32_e32 v7, 0x3ff, v40
	s_mov_b32 s33, s10
	s_mov_b32 s54, s9
	;; [unrolled: 1-line block ×3, first 2 shown]
	s_mov_b64 s[34:35], s[6:7]
	s_mov_b64 s[36:37], s[4:5]
	;; [unrolled: 1-line block ×4, first 2 shown]
	v_cmp_gt_u32_e32 vcc, 12, v7
	s_mov_b32 s32, 0
	s_and_saveexec_b64 s[0:1], vcc
	s_cbranch_execz .LBB0_2
; %bb.1:
	v_lshlrev_b32_e32 v0, 2, v7
	global_load_dword v1, v0, s[36:37]
	s_waitcnt vmcnt(0)
	ds_write_b32 v0, v1 offset:32896
.LBB0_2:
	s_or_b64 exec, exec, s[0:1]
	s_load_dword s14, s[36:37], 0x100c
	v_lshrrev_b32_e32 v8, 6, v7
	v_cmp_lt_i32_e32 vcc, 0, v8
	s_and_saveexec_b64 s[0:1], vcc
	s_xor_b64 s[0:1], exec, s[0:1]
	s_cbranch_execz .LBB0_16
; %bb.3:
	v_cmp_lt_i32_e32 vcc, 2, v8
	s_and_saveexec_b64 s[2:3], vcc
	s_xor_b64 s[2:3], exec, s[2:3]
	s_cbranch_execz .LBB0_8
; %bb.4:
	v_cmp_eq_u32_e32 vcc, 3, v8
	s_and_saveexec_b64 s[4:5], vcc
	s_cbranch_execz .LBB0_7
; %bb.5:
	s_movk_i32 s6, 0xc0
	v_cmp_eq_u32_e32 vcc, s6, v7
	s_and_b64 exec, exec, vcc
; %bb.6:
	v_mov_b32_e32 v0, 0
	ds_write_b32 v0, v0 offset:32948
.LBB0_7:
	s_or_b64 exec, exec, s[4:5]
.LBB0_8:
	s_andn2_saveexec_b64 s[2:3], s[2:3]
	s_cbranch_execz .LBB0_15
; %bb.9:
	v_cmp_eq_u32_e32 vcc, 1, v8
	s_and_saveexec_b64 s[4:5], vcc
	s_cbranch_execz .LBB0_14
; %bb.10:
	s_movk_i32 s6, 0x48
	v_cmp_gt_u32_e32 vcc, s6, v7
	s_and_b64 exec, exec, vcc
	s_cbranch_execz .LBB0_14
; %bb.11:
	v_cmp_eq_u32_e32 vcc, 64, v7
	s_and_saveexec_b64 s[6:7], vcc
; %bb.12:
	v_mov_b32_e32 v0, 0
	v_mov_b32_e32 v1, v0
	ds_write_b64 v0, v[0:1] offset:37592
; %bb.13:
	s_or_b64 exec, exec, s[6:7]
	v_mov_b32_e32 v2, 0
	v_mul_u32_u24_e32 v0, 0x160, v7
	v_mov_b32_e32 v3, v2
	ds_write_b64 v0, v[2:3] offset:11224
.LBB0_14:
	s_or_b64 exec, exec, s[4:5]
.LBB0_15:
	s_or_b64 exec, exec, s[2:3]
.LBB0_16:
	s_andn2_saveexec_b64 s[0:1], s[0:1]
	s_cbranch_execz .LBB0_22
; %bb.17:
	s_load_dwordx2 s[4:5], s[36:37], 0x8
	v_lshlrev_b64 v[2:3], v7, 1
	s_mov_b64 s[2:3], 0
	v_lshl_add_u64 v[0:1], v[2:3], 0, -1
	s_waitcnt lgkmcnt(0)
	v_and_b32_e32 v5, s5, v3
	v_and_b32_e32 v4, s4, v2
	v_cmp_eq_u64_e64 s[8:9], 0, v[4:5]
	v_cmp_ne_u64_e32 vcc, 0, v[4:5]
	s_and_saveexec_b64 s[6:7], vcc
	s_cbranch_execz .LBB0_54
; %bb.18:
	v_and_b32_e32 v5, s4, v0
	v_and_b32_e32 v4, s5, v1
	v_bcnt_u32_b32 v5, v5, 0
	v_bcnt_u32_b32 v4, v4, v5
	v_cmp_ne_u32_e32 vcc, s55, v4
	s_andn2_b64 s[8:9], s[8:9], exec
	s_and_b64 s[10:11], vcc, exec
	s_mov_b64 s[2:3], exec
	s_or_b64 s[8:9], s[8:9], s[10:11]
	s_or_b64 exec, exec, s[6:7]
	v_mov_b32_e32 v4, 0
	s_and_saveexec_b64 s[6:7], s[8:9]
	s_cbranch_execnz .LBB0_55
.LBB0_19:
	s_or_b64 exec, exec, s[6:7]
	s_and_saveexec_b64 s[4:5], s[2:3]
.LBB0_20:
	v_add_u32_e32 v0, v4, v7
	v_mov_b32_e32 v1, 0
	ds_write_b32 v1, v0 offset:32944
.LBB0_21:
	s_or_b64 exec, exec, s[4:5]
.LBB0_22:
	s_or_b64 exec, exec, s[0:1]
	v_cmp_eq_u32_e64 s[50:51], 0, v7
	s_waitcnt lgkmcnt(0)
	s_barrier
	s_and_saveexec_b64 s[0:1], s[50:51]
	s_cbranch_execz .LBB0_24
; %bb.23:
	v_mov_b32_e32 v4, 0
	ds_read_b32 v2, v4 offset:32944
	ds_read_b64 v[0:1], v4 offset:32896
	s_movk_i32 s2, 0x180
	s_waitcnt lgkmcnt(1)
	v_mul_hi_i32 v3, v2, s2
	v_mul_lo_u32 v2, v2, s2
	s_waitcnt lgkmcnt(0)
	v_lshl_add_u64 v[0:1], v[0:1], 0, v[2:3]
	flat_load_dwordx2 v[0:1], v[0:1] offset:464
	ds_write_b32 v4, v4 offset:32948
	s_waitcnt vmcnt(0) lgkmcnt(0)
	ds_write_b64 v4, v[0:1] offset:33424
.LBB0_24:
	s_or_b64 exec, exec, s[0:1]
	s_and_b32 s68, 0xffff, s14
	v_cmp_lt_i32_e32 vcc, 0, v8
	s_and_saveexec_b64 s[0:1], vcc
	s_xor_b64 s[4:5], exec, s[0:1]
	s_cbranch_execz .LBB0_63
; %bb.25:
	v_cmp_ne_u32_e32 vcc, 1, v8
	s_and_saveexec_b64 s[0:1], vcc
	s_xor_b64 s[6:7], exec, s[0:1]
	s_cbranch_execz .LBB0_58
; %bb.26:
	v_add_u32_e32 v11, 0xffffff80, v7
	v_ashrrev_i16_e32 v0, 15, v11
	v_lshrrev_b16_e32 v0, 10, v0
	v_add_u16_e32 v0, v11, v0
	v_and_b32_e32 v0, 0xffffffc0, v0
	v_sub_u16_e32 v9, v11, v0
	v_bfe_i32 v0, v9, 0, 16
	v_lshlrev_b64 v[0:1], v0, 1
	s_add_i32 s16, s68, 0xffffff80
	s_movk_i32 s17, 0xffc0
	v_mul_u32_u24_e32 v10, 0x1010, v8
	v_lshl_add_u64 v[2:3], v[0:1], 0, -1
	s_mov_b32 s18, 0
	v_mov_b32_e32 v5, 0
	s_mov_b32 s19, 0x66666667
	s_mov_b32 s8, s55
                                        ; implicit-def: $vgpr16_vgpr17_vgpr18_vgpr19
	s_branch .LBB0_29
.LBB0_27:                               ;   in Loop: Header=BB0_29 Depth=1
	s_or_b64 exec, exec, s[12:13]
	s_mov_b32 s11, s8
	v_mov_b32_e32 v4, v11
.LBB0_28:                               ;   in Loop: Header=BB0_29 Depth=1
	s_andn2_b64 vcc, exec, s[2:3]
	s_mov_b32 s8, s11
	v_mov_b32_e32 v11, v4
	s_cbranch_vccz .LBB0_58
.LBB0_29:                               ; =>This Inner Loop Header: Depth=1
	s_ashr_i32 s9, s8, 31
	s_lshl_b64 s[0:1], s[8:9], 4
	s_add_u32 s0, s36, s0
	s_addc_u32 s1, s37, s1
	s_load_dwordx2 s[2:3], s[0:1], 0x38
	s_waitcnt lgkmcnt(0)
	v_and_b32_e32 v13, s3, v1
	v_and_b32_e32 v12, s2, v0
	v_cmp_ne_u64_e32 vcc, 0, v[12:13]
	s_and_saveexec_b64 s[10:11], vcc
	s_cbranch_execz .LBB0_31
; %bb.30:                               ;   in Loop: Header=BB0_29 Depth=1
	v_and_b32_e32 v6, s2, v2
	v_and_b32_e32 v4, s3, v3
	v_bcnt_u32_b32 v6, v6, 0
	v_bcnt_u32_b32 v4, v4, v6
	v_add_u32_e32 v4, v10, v4
	ds_write_b8 v4, v9
.LBB0_31:                               ;   in Loop: Header=BB0_29 Depth=1
	s_or_b64 exec, exec, s[10:11]
	s_load_dwordx2 s[10:11], s[0:1], 0x30
	s_bcnt1_i32_b64 s20, s[2:3]
	s_mov_b64 s[0:1], -1
                                        ; implicit-def: $vgpr12
                                        ; implicit-def: $vgpr13
                                        ; implicit-def: $vgpr4
                                        ; implicit-def: $vgpr14
	s_waitcnt lgkmcnt(0)
	s_bfe_u32 s9, s10, 0x2000f
	s_cmp_lt_i32 s9, 1
	s_cbranch_scc1 .LBB0_39
; %bb.32:                               ;   in Loop: Header=BB0_29 Depth=1
	s_cmp_lg_u32 s9, 1
                                        ; implicit-def: $vgpr12
                                        ; implicit-def: $vgpr13
                                        ; implicit-def: $vgpr4
	s_cbranch_scc0 .LBB0_34
; %bb.33:                               ;   in Loop: Header=BB0_29 Depth=1
	v_mul_hi_i32 v6, v11, s19
	v_lshrrev_b32_e32 v12, 31, v6
	v_ashrrev_i32_e32 v6, 3, v6
	v_add_u32_e32 v12, v6, v12
	v_mul_lo_u32 v6, v12, 20
	v_mul_u32_u24_e64 v4, s20, 20
	v_sub_u32_e32 v13, v11, v6
	s_mov_b64 s[0:1], 0
.LBB0_34:                               ;   in Loop: Header=BB0_29 Depth=1
	s_andn2_b64 vcc, exec, s[0:1]
	s_movk_i32 s2, 0x140
	s_cbranch_vccnz .LBB0_36
; %bb.35:                               ;   in Loop: Header=BB0_29 Depth=1
	v_ashrrev_i32_e32 v4, 31, v11
	v_lshrrev_b32_e32 v4, 29, v4
	v_add_u32_e32 v4, v11, v4
	s_lshl_b32 s0, s20, 3
	v_ashrrev_i32_e32 v12, 3, v4
	v_and_b32_e32 v4, -8, v4
	v_sub_u32_e32 v13, v11, v4
	s_movk_i32 s2, 0x80
	v_mov_b32_e32 v4, s0
.LBB0_36:                               ;   in Loop: Header=BB0_29 Depth=1
	v_mov_b32_e32 v14, s2
	s_cbranch_execz .LBB0_40
.LBB0_37:                               ;   in Loop: Header=BB0_29 Depth=1
	v_cmp_eq_u32_e64 s[0:1], 0, v11
	s_and_saveexec_b64 s[2:3], s[0:1]
	s_cbranch_execz .LBB0_41
.LBB0_38:                               ;   in Loop: Header=BB0_29 Depth=1
	ds_write_b32 v5, v14 offset:33456
	s_or_b64 exec, exec, s[2:3]
	v_cmp_lt_i32_e32 vcc, v11, v4
	s_and_saveexec_b64 s[12:13], vcc
	s_cbranch_execz .LBB0_49
	s_branch .LBB0_42
.LBB0_39:                               ;   in Loop: Header=BB0_29 Depth=1
	s_andn2_b64 vcc, exec, s[0:1]
	s_cbranch_vccnz .LBB0_37
.LBB0_40:                               ;   in Loop: Header=BB0_29 Depth=1
	v_ashrrev_i32_e32 v4, 31, v11
	v_lshrrev_b32_e32 v4, 30, v4
	v_add_u32_e32 v4, v11, v4
	s_lshl_b32 s0, s20, 2
	v_ashrrev_i32_e32 v12, 2, v4
	v_and_b32_e32 v4, -4, v4
	v_sub_u32_e32 v13, v11, v4
	v_mov_b32_e32 v14, 64
	v_mov_b32_e32 v4, s0
	v_cmp_eq_u32_e64 s[0:1], 0, v11
	s_and_saveexec_b64 s[2:3], s[0:1]
	s_cbranch_execnz .LBB0_38
.LBB0_41:                               ;   in Loop: Header=BB0_29 Depth=1
	s_or_b64 exec, exec, s[2:3]
	v_cmp_lt_i32_e32 vcc, v11, v4
	s_and_saveexec_b64 s[12:13], vcc
	s_cbranch_execz .LBB0_49
.LBB0_42:                               ;   in Loop: Header=BB0_29 Depth=1
	ds_read_u8 v6, v5 offset:32920
	v_add_u32_e32 v4, v10, v12
	ds_read_u8 v4, v4
	s_waitcnt lgkmcnt(1)
	v_cmp_ne_u32_e64 s[2:3], 0, v6
	s_and_b64 vcc, exec, s[2:3]
	s_cbranch_vccz .LBB0_45
; %bb.43:                               ;   in Loop: Header=BB0_29 Depth=1
	s_mov_b64 s[14:15], -1
	s_and_b64 vcc, exec, s[2:3]
                                        ; implicit-def: $vgpr20_vgpr21_vgpr22_vgpr23
                                        ; implicit-def: $vgpr6
	s_cbranch_vccz .LBB0_46
.LBB0_44:                               ;   in Loop: Header=BB0_29 Depth=1
	ds_read_b32 v15, v5 offset:32924
	ds_read_b64 v[20:21], v5 offset:32928
	s_waitcnt lgkmcnt(2)
	v_mul_u32_u24_e32 v4, v14, v4
	v_lshlrev_b32_e32 v6, 4, v13
	v_add3_u32 v4, v6, s11, v4
	s_waitcnt lgkmcnt(1)
	v_and_b32_e32 v4, v15, v4
	s_waitcnt lgkmcnt(0)
	v_lshl_add_u64 v[20:21], v[20:21], 0, v[4:5]
	flat_load_dwordx4 v[20:23], v[20:21]
	s_cbranch_execz .LBB0_47
	s_branch .LBB0_48
.LBB0_45:                               ;   in Loop: Header=BB0_29 Depth=1
	s_waitcnt lgkmcnt(0)
	v_mul_u32_u24_e32 v6, v14, v4
	v_lshlrev_b32_e32 v15, 4, v13
	v_add3_u32 v6, v15, s11, v6
	global_load_dwordx4 v[16:19], v6, s[36:37]
	s_mov_b64 s[14:15], -1
	s_and_b64 vcc, exec, s[2:3]
                                        ; implicit-def: $vgpr20_vgpr21_vgpr22_vgpr23
                                        ; implicit-def: $vgpr6
	s_cbranch_vccnz .LBB0_44
.LBB0_46:                               ;   in Loop: Header=BB0_29 Depth=1
	s_andn2_b64 vcc, exec, s[14:15]
	s_cbranch_vccnz .LBB0_48
.LBB0_47:                               ;   in Loop: Header=BB0_29 Depth=1
	s_waitcnt vmcnt(0) lgkmcnt(0)
	v_mov_b64_e32 v[22:23], v[18:19]
	v_lshlrev_b32_e32 v6, 4, v13
	v_mov_b64_e32 v[20:21], v[16:17]
.LBB0_48:                               ;   in Loop: Header=BB0_29 Depth=1
	s_waitcnt lgkmcnt(0)
	v_add_u32_e32 v4, s18, v12
	s_waitcnt vmcnt(0)
	v_mov_b64_e32 v[16:17], v[20:21]
	v_mad_u64_u32 v[12:13], s[2:3], v4, v14, v[6:7]
	v_mov_b64_e32 v[18:19], v[22:23]
	ds_write_b128 v12, v[20:23] offset:36560
.LBB0_49:                               ;   in Loop: Header=BB0_29 Depth=1
	s_or_b64 exec, exec, s[12:13]
	s_bitcmp0_b32 s10, 14
	s_cselect_b64 s[2:3], -1, 0
	s_mov_b64 s[12:13], -1
	s_and_b64 vcc, exec, s[2:3]
	v_readfirstlane_b32 s11, v0
                                        ; implicit-def: $vgpr4
	s_cbranch_vccnz .LBB0_51
; %bb.50:                               ;   in Loop: Header=BB0_29 Depth=1
	v_mov_b32_e32 v4, s16
	v_cmp_gt_i32_e32 vcc, 64, v11
	s_and_b32 s11, s10, 0x3fff
	s_add_i32 s11, s11, s8
	v_cndmask_b32_e32 v4, 0, v4, vcc
	v_add3_u32 v4, v11, v4, s17
	s_add_i32 s18, s18, s20
	s_cbranch_execnz .LBB0_28
	s_branch .LBB0_52
.LBB0_51:                               ;   in Loop: Header=BB0_29 Depth=1
	s_andn2_b64 vcc, exec, s[12:13]
	s_add_i32 s18, s18, s20
	s_cbranch_vccnz .LBB0_28
.LBB0_52:                               ;   in Loop: Header=BB0_29 Depth=1
	s_and_saveexec_b64 s[12:13], s[0:1]
	s_cbranch_execz .LBB0_27
; %bb.53:                               ;   in Loop: Header=BB0_29 Depth=1
	s_and_b32 s0, s10, 0x3fff
	s_add_i32 s1, s0, s8
	s_cmp_lg_u32 s0, 0
	s_cselect_b32 s0, s1, -1
	v_mov_b32_e32 v4, s9
	v_mov_b32_e32 v13, s0
	ds_write_b8 v5, v4 offset:33448
	v_mov_b32_e32 v4, s18
	s_lshr_b32 s0, s10, 17
	v_mov_b32_e32 v12, s8
	ds_write_b32 v5, v4 offset:33452
	v_mov_b32_e32 v4, s0
	v_mov_b32_e32 v11, 0
	ds_write_b64 v5, v[12:13] offset:33440
	ds_write_b16 v5, v4 offset:33450
	s_branch .LBB0_27
.LBB0_54:
	s_or_b64 exec, exec, s[6:7]
	v_mov_b32_e32 v4, 0
	s_and_saveexec_b64 s[6:7], s[8:9]
	s_cbranch_execz .LBB0_19
.LBB0_55:
	s_load_dwordx2 s[12:13], s[36:37], 0x10
	s_mov_b64 s[8:9], 0
                                        ; implicit-def: $sgpr15
	s_waitcnt lgkmcnt(0)
	v_and_b32_e32 v3, s13, v3
	v_and_b32_e32 v2, s12, v2
	v_cmp_ne_u64_e32 vcc, 0, v[2:3]
	s_and_saveexec_b64 s[10:11], vcc
	s_xor_b64 s[10:11], exec, s[10:11]
; %bb.56:
	v_and_b32_e32 v0, s12, v0
	v_and_b32_e32 v1, s13, v1
	v_bcnt_u32_b32 v0, v0, 0
	s_bcnt1_i32_b64 s15, s[4:5]
	v_bcnt_u32_b32 v0, v1, v0
	v_add_u32_e32 v0, s15, v0
	v_cmp_eq_u32_e32 vcc, s55, v0
	s_and_b64 s[8:9], vcc, exec
; %bb.57:
	s_or_b64 exec, exec, s[10:11]
	s_andn2_b64 s[2:3], s[2:3], exec
	s_and_b64 s[4:5], s[8:9], exec
	v_mov_b32_e32 v4, s15
	s_or_b64 s[2:3], s[2:3], s[4:5]
	s_or_b64 exec, exec, s[6:7]
	s_and_saveexec_b64 s[4:5], s[2:3]
	s_cbranch_execnz .LBB0_20
	s_branch .LBB0_21
.LBB0_58:
	s_andn2_saveexec_b64 s[0:1], s[6:7]
	s_cbranch_execz .LBB0_62
; %bb.59:
	s_movk_i32 s2, 0x58
	v_cmp_gt_u32_e32 vcc, s2, v7
	s_and_saveexec_b64 s[2:3], vcc
	s_cbranch_execz .LBB0_61
; %bb.60:
	v_mov_b32_e32 v0, 0
	ds_read_b32 v2, v0 offset:32944
	ds_read_b64 v[0:1], v0 offset:32896
	s_movk_i32 s6, 0x180
	v_lshlrev_b32_e32 v4, 4, v7
	s_waitcnt lgkmcnt(1)
	v_mul_hi_i32 v3, v2, s6
	v_mul_lo_u32 v2, v2, s6
	s_waitcnt lgkmcnt(0)
	v_lshl_add_u64 v[0:1], v[0:1], 0, v[2:3]
	v_add_u32_e32 v2, 0xfffffc00, v4
	v_ashrrev_i32_e32 v3, 31, v2
	v_lshl_add_u64 v[0:1], v[0:1], 0, v[2:3]
	flat_load_dwordx4 v[0:3], v[0:1] offset:96
	s_waitcnt vmcnt(0) lgkmcnt(0)
	ds_write_b128 v4, v[0:3] offset:32032
.LBB0_61:
	s_or_b64 exec, exec, s[2:3]
.LBB0_62:
	s_or_b64 exec, exec, s[0:1]
.LBB0_63:
	s_andn2_saveexec_b64 s[0:1], s[4:5]
	s_cbranch_execz .LBB0_67
; %bb.64:
	v_cmp_gt_u32_e32 vcc, 6, v7
	s_and_saveexec_b64 s[2:3], vcc
	s_cbranch_execz .LBB0_66
; %bb.65:
	v_mov_b32_e32 v5, 0
	ds_read_b64 v[0:1], v5 offset:32896
	v_lshlrev_b32_e32 v4, 4, v7
	s_waitcnt lgkmcnt(0)
	v_lshl_add_u64 v[0:1], v[0:1], 0, v[4:5]
	flat_load_dwordx4 v[0:3], v[0:1]
	s_waitcnt vmcnt(0) lgkmcnt(0)
	ds_write_b128 v4, v[0:3] offset:32960
.LBB0_66:
	s_or_b64 exec, exec, s[2:3]
.LBB0_67:
	s_or_b64 exec, exec, s[0:1]
	v_mov_b32_e32 v43, 0
	s_waitcnt lgkmcnt(0)
	s_barrier
	ds_read_b32 v0, v43 offset:32948
	s_waitcnt lgkmcnt(0)
	v_cmp_ne_u32_e32 vcc, 0, v0
	s_cbranch_vccz .LBB0_80
.LBB0_68:
	s_and_saveexec_b64 s[0:1], s[50:51]
	s_cbranch_execz .LBB0_79
; %bb.69:
	v_mov_b32_e32 v5, 0
	ds_read_b64 v[2:3], v5 offset:33424
	ds_read_b32 v6, v5 offset:33452
	s_waitcnt lgkmcnt(0)
	v_lshl_add_u64 v[0:1], v[2:3], 0, 1
	v_ashrrev_i32_e32 v7, 31, v6
	v_lshl_add_u64 v[8:9], v[2:3], 0, v[6:7]
	v_cmp_gt_u64_e32 vcc, v[0:1], v[8:9]
	s_cbranch_vccnz .LBB0_78
; %bb.70:
	ds_read_u8 v10, v5 offset:33448
	s_mov_b32 s2, 0x8f0e
	s_mov_b32 s3, 0x8eda
	s_branch .LBB0_72
.LBB0_71:                               ;   in Loop: Header=BB0_72 Depth=1
	s_waitcnt lgkmcnt(0)
	v_ashrrev_i32_e32 v7, 31, v6
	v_lshl_add_u64 v[0:1], v[0:1], 0, 1
	v_lshl_add_u64 v[8:9], v[2:3], 0, v[6:7]
	v_cmp_le_u64_e32 vcc, v[0:1], v[8:9]
	s_add_i32 s2, s2, 64
	s_addk_i32 s3, 0x80
	s_cbranch_vccz .LBB0_78
.LBB0_72:                               ; =>This Inner Loop Header: Depth=1
	s_waitcnt lgkmcnt(0)
	v_cmp_ne_u32_sdwa s[0:1], v10, v5 src0_sel:BYTE_0 src1_sel:DWORD
	s_and_b64 vcc, exec, s[0:1]
	s_cbranch_vccz .LBB0_77
; %bb.73:                               ;   in Loop: Header=BB0_72 Depth=1
	v_mov_b32_e32 v4, s3
	ds_read_u8 v4, v4
	s_waitcnt lgkmcnt(0)
	v_and_b32_e32 v4, 1, v4
	s_cbranch_execnz .LBB0_75
.LBB0_74:                               ;   in Loop: Header=BB0_72 Depth=1
	v_mov_b32_e32 v4, s2
	ds_read_u16 v4, v4
	s_waitcnt lgkmcnt(0)
	v_bfe_u32 v4, v4, 6, 1
.LBB0_75:                               ;   in Loop: Header=BB0_72 Depth=1
	v_cmp_eq_u32_e32 vcc, 0, v4
	s_cbranch_vccnz .LBB0_71
; %bb.76:                               ;   in Loop: Header=BB0_72 Depth=1
	s_memrealtime s[0:1]
	ds_read_u8 v10, v5 offset:33448
	ds_read_b32 v2, v5 offset:32944
	ds_read_b64 v[6:7], v5 offset:33048
	v_and_b32_e32 v4, 63, v0
	v_lshlrev_b32_e32 v4, 4, v4
	s_waitcnt lgkmcnt(0)
	v_ashrrev_i32_e32 v3, 31, v2
	v_lshlrev_b64 v[2:3], 10, v[2:3]
	v_lshl_add_u64 v[2:3], v[6:7], 0, v[2:3]
	v_lshl_add_u64 v[6:7], v[2:3], 0, v[4:5]
	v_mov_b32_e32 v2, s0
	v_mov_b32_e32 v3, s1
	flat_store_dwordx4 v[6:7], v[0:3]
	ds_read_b64 v[2:3], v5 offset:33424
	ds_read_b32 v6, v5 offset:33452
	s_branch .LBB0_71
.LBB0_77:                               ;   in Loop: Header=BB0_72 Depth=1
                                        ; implicit-def: $vgpr4
	s_branch .LBB0_74
.LBB0_78:
	v_mov_b32_e32 v2, 0
	ds_read_b32 v4, v2 offset:32944
	ds_read_b64 v[0:1], v2 offset:32896
	s_movk_i32 s0, 0x180
	ds_write_b64 v2, v[8:9] offset:33424
	s_waitcnt lgkmcnt(0)
	v_mul_hi_i32 v3, v4, s0
	v_mul_lo_u32 v2, v4, s0
	v_lshl_add_u64 v[0:1], v[0:1], 0, v[2:3]
	flat_store_dwordx2 v[0:1], v[8:9] offset:464
.LBB0_79:
	s_endpgm
.LBB0_80:
	s_movk_i32 s0, 0x48
	v_cmp_eq_u32_e32 vcc, 1, v8
	v_cmp_gt_u32_e64 s[0:1], s0, v7
	s_and_b64 s[64:65], vcc, s[0:1]
	s_movk_i32 s0, 0x160
	v_mov_b32_e32 v0, 0x2bd8
	v_lshlrev_b64 v[44:45], v7, 1
	v_cmp_eq_u32_e64 s[52:53], 64, v7
	v_mad_u32_u24 v41, v7, s0, v0
	v_and_b32_e32 v56, 63, v7
	v_mul_u32_u24_e32 v57, 0x1010, v8
	v_lshl_add_u64 v[46:47], v[44:45], 0, -1
	s_movk_i32 s69, 0x58
	s_mov_b32 s70, 0x66666667
	s_movk_i32 s71, 0xffc0
	v_mov_b32_e32 v58, v43
	v_mov_b32_e32 v59, v43
	s_branch .LBB0_82
.LBB0_81:                               ;   in Loop: Header=BB0_82 Depth=1
	s_waitcnt lgkmcnt(0)
	s_barrier
	ds_read_b32 v0, v43 offset:32948
	s_waitcnt lgkmcnt(0)
	v_cmp_ne_u32_e64 s[0:1], 0, v0
	s_and_b64 vcc, exec, s[0:1]
	s_cbranch_vccnz .LBB0_68
.LBB0_82:                               ; =>This Loop Header: Depth=1
                                        ;     Child Loop BB0_86 Depth 2
                                        ;     Child Loop BB0_741 Depth 2
	;; [unrolled: 1-line block ×3, first 2 shown]
	s_and_saveexec_b64 s[0:1], s[50:51]
	s_cbranch_execz .LBB0_92
; %bb.83:                               ;   in Loop: Header=BB0_82 Depth=1
	ds_read_b64 v[2:3], v43 offset:33424
	ds_read_b32 v4, v43 offset:33452
	s_waitcnt lgkmcnt(0)
	v_lshl_add_u64 v[0:1], v[2:3], 0, 1
	s_waitcnt lgkmcnt(0)
	v_ashrrev_i32_e32 v5, 31, v4
	v_lshl_add_u64 v[6:7], v[2:3], 0, v[4:5]
	v_cmp_gt_u64_e32 vcc, v[0:1], v[6:7]
	s_cbranch_vccnz .LBB0_92
; %bb.84:                               ;   in Loop: Header=BB0_82 Depth=1
	ds_read_u8 v6, v43 offset:33448
	s_mov_b32 s4, 0x8f0e
	s_mov_b32 s5, 0x8eda
	s_branch .LBB0_86
.LBB0_85:                               ;   in Loop: Header=BB0_86 Depth=2
	s_waitcnt lgkmcnt(0)
	v_ashrrev_i32_e32 v5, 31, v4
	v_lshl_add_u64 v[0:1], v[0:1], 0, 1
	v_lshl_add_u64 v[8:9], v[2:3], 0, v[4:5]
	v_cmp_le_u64_e32 vcc, v[0:1], v[8:9]
	s_add_i32 s4, s4, 64
	s_addk_i32 s5, 0x80
	s_cbranch_vccz .LBB0_92
.LBB0_86:                               ;   Parent Loop BB0_82 Depth=1
                                        ; =>  This Inner Loop Header: Depth=2
	s_waitcnt lgkmcnt(0)
	v_cmp_ne_u32_sdwa s[2:3], v6, v43 src0_sel:BYTE_0 src1_sel:DWORD
	s_and_b64 vcc, exec, s[2:3]
	s_cbranch_vccz .LBB0_91
; %bb.87:                               ;   in Loop: Header=BB0_86 Depth=2
	v_mov_b32_e32 v5, s5
	ds_read_u8 v5, v5
	s_waitcnt lgkmcnt(0)
	v_and_b32_e32 v5, 1, v5
	s_cbranch_execnz .LBB0_89
.LBB0_88:                               ;   in Loop: Header=BB0_86 Depth=2
	v_mov_b32_e32 v5, s4
	ds_read_u16 v5, v5
	s_waitcnt lgkmcnt(0)
	v_bfe_u32 v5, v5, 6, 1
.LBB0_89:                               ;   in Loop: Header=BB0_86 Depth=2
	v_cmp_eq_u32_e32 vcc, 0, v5
	s_cbranch_vccnz .LBB0_85
; %bb.90:                               ;   in Loop: Header=BB0_86 Depth=2
	s_memrealtime s[2:3]
	ds_read_u8 v6, v43 offset:33448
	ds_read_b32 v2, v43 offset:32944
	ds_read_b64 v[4:5], v43 offset:33040
	v_and_b32_e32 v7, 63, v0
	v_lshlrev_b32_e32 v42, 4, v7
	s_waitcnt lgkmcnt(0)
	v_ashrrev_i32_e32 v3, 31, v2
	v_lshlrev_b64 v[2:3], 10, v[2:3]
	v_lshl_add_u64 v[2:3], v[4:5], 0, v[2:3]
	v_lshl_add_u64 v[4:5], v[2:3], 0, v[42:43]
	v_mov_b32_e32 v2, s2
	v_mov_b32_e32 v3, s3
	flat_store_dwordx4 v[4:5], v[0:3]
	ds_read_b64 v[2:3], v43 offset:33424
	ds_read_b32 v4, v43 offset:33452
	s_branch .LBB0_85
.LBB0_91:                               ;   in Loop: Header=BB0_86 Depth=2
                                        ; implicit-def: $vgpr5
	s_branch .LBB0_88
.LBB0_92:                               ;   in Loop: Header=BB0_82 Depth=1
	s_or_b64 exec, exec, s[0:1]
	ds_read_u16 v0, v43 offset:33450
	s_waitcnt lgkmcnt(0)
	v_cmp_gt_u32_sdwa s[0:1], v0, s69 src0_sel:WORD_0 src1_sel:DWORD
	v_readfirstlane_b32 s80, v0
	s_and_b64 vcc, exec, s[0:1]
	s_mov_b64 s[0:1], -1
	s_cbranch_vccz .LBB0_421
; %bb.93:                               ;   in Loop: Header=BB0_82 Depth=1
	s_and_b32 s81, 0xffff, s80
	s_cmpk_gt_u32 s81, 0x85
	s_cbranch_scc0 .LBB0_258
; %bb.94:                               ;   in Loop: Header=BB0_82 Depth=1
	s_cmpk_gt_u32 s81, 0x9b
	s_cbranch_scc0 .LBB0_179
; %bb.95:                               ;   in Loop: Header=BB0_82 Depth=1
	;; [unrolled: 3-line block ×5, first 2 shown]
	s_sext_i32_i16 s0, s80
	s_mov_b64 s[2:3], -1
	s_mov_b64 s[66:67], 0
	s_cmpk_lt_i32 s0, 0xb1
	s_mov_b64 s[0:1], 0
	s_cbranch_scc1 .LBB0_104
; %bb.99:                               ;   in Loop: Header=BB0_82 Depth=1
	s_cmpk_eq_i32 s81, 0xb1
	s_mov_b64 s[0:1], -1
	s_cbranch_scc0 .LBB0_101
; %bb.100:                              ;   in Loop: Header=BB0_82 Depth=1
	s_add_u32 s8, s36, 0x1000
	s_addc_u32 s9, s37, 0
	s_getpc_b64 s[0:1]
	s_add_u32 s0, s0, _Z45ncclDevFunc_SendRecv_RING_SIMPLE_Sum_i8_0_0_1v@rel32@lo+4
	s_addc_u32 s1, s1, _Z45ncclDevFunc_SendRecv_RING_SIMPLE_Sum_i8_0_0_1v@rel32@hi+12
	s_mov_b64 s[4:5], s[48:49]
	s_mov_b64 s[6:7], s[38:39]
	;; [unrolled: 1-line block ×3, first 2 shown]
	s_mov_b32 s12, s55
	s_mov_b32 s13, s54
	;; [unrolled: 1-line block ×3, first 2 shown]
	v_mov_b32_e32 v31, v40
	s_swappc_b64 s[30:31], s[0:1]
	s_mov_b64 s[0:1], 0
.LBB0_101:                              ;   in Loop: Header=BB0_82 Depth=1
.LBB0_102:                              ;   in Loop: Header=BB0_82 Depth=1
	s_andn2_b64 vcc, exec, s[0:1]
	s_cbranch_vccnz .LBB0_106
.LBB0_103:                              ;   in Loop: Header=BB0_82 Depth=1
	s_add_u32 s8, s36, 0x1000
	s_addc_u32 s9, s37, 0
	s_getpc_b64 s[0:1]
	s_add_u32 s0, s0, _Z50ncclDevFunc_AlltoAllPivot_RING_SIMPLE_Sum_i8_0_0_1v@rel32@lo+4
	s_addc_u32 s1, s1, _Z50ncclDevFunc_AlltoAllPivot_RING_SIMPLE_Sum_i8_0_0_1v@rel32@hi+12
	s_mov_b64 s[4:5], s[48:49]
	s_mov_b64 s[6:7], s[38:39]
	;; [unrolled: 1-line block ×3, first 2 shown]
	s_mov_b32 s12, s55
	s_mov_b32 s13, s54
	;; [unrolled: 1-line block ×3, first 2 shown]
	v_mov_b32_e32 v31, v40
	s_swappc_b64 s[30:31], s[0:1]
	s_cbranch_execz .LBB0_107
	s_branch .LBB0_108
.LBB0_104:                              ;   in Loop: Header=BB0_82 Depth=1
	s_and_b64 vcc, exec, s[2:3]
	s_cbranch_vccz .LBB0_102
; %bb.105:                              ;   in Loop: Header=BB0_82 Depth=1
	s_cmpk_lg_i32 s81, 0xb0
	s_mov_b64 s[66:67], -1
	s_cselect_b64 s[0:1], -1, 0
	s_andn2_b64 vcc, exec, s[0:1]
	s_cbranch_vccz .LBB0_103
.LBB0_106:                              ;   in Loop: Header=BB0_82 Depth=1
	s_andn2_b64 vcc, exec, s[66:67]
	s_cbranch_vccnz .LBB0_108
.LBB0_107:                              ;   in Loop: Header=BB0_82 Depth=1
	s_add_u32 s8, s36, 0x1000
	s_addc_u32 s9, s37, 0
	s_getpc_b64 s[0:1]
	s_add_u32 s0, s0, _Z54ncclDevFunc_AllReduce_RING_SIMPLE_SumPostDiv_u64_1_0_1v@rel32@lo+4
	s_addc_u32 s1, s1, _Z54ncclDevFunc_AllReduce_RING_SIMPLE_SumPostDiv_u64_1_0_1v@rel32@hi+12
	s_mov_b64 s[4:5], s[48:49]
	s_mov_b64 s[6:7], s[38:39]
	;; [unrolled: 1-line block ×3, first 2 shown]
	s_mov_b32 s12, s55
	s_mov_b32 s13, s54
	;; [unrolled: 1-line block ×3, first 2 shown]
	v_mov_b32_e32 v31, v40
	s_swappc_b64 s[30:31], s[0:1]
.LBB0_108:                              ;   in Loop: Header=BB0_82 Depth=1
	s_mov_b64 s[0:1], 0
.LBB0_109:                              ;   in Loop: Header=BB0_82 Depth=1
	s_and_b64 vcc, exec, s[0:1]
	s_cbranch_vccz .LBB0_118
; %bb.110:                              ;   in Loop: Header=BB0_82 Depth=1
	s_sext_i32_i16 s0, s80
	s_cmpk_lt_i32 s0, 0xae
	s_mov_b64 s[0:1], -1
	s_cbranch_scc1 .LBB0_116
; %bb.111:                              ;   in Loop: Header=BB0_82 Depth=1
	s_cmpk_lg_i32 s81, 0xae
	s_cbranch_scc0 .LBB0_113
; %bb.112:                              ;   in Loop: Header=BB0_82 Depth=1
	s_add_u32 s8, s36, 0x1000
	s_addc_u32 s9, s37, 0
	s_getpc_b64 s[0:1]
	s_add_u32 s0, s0, _Z54ncclDevFunc_AllReduce_RING_SIMPLE_SumPostDiv_u64_0_0_1v@rel32@lo+4
	s_addc_u32 s1, s1, _Z54ncclDevFunc_AllReduce_RING_SIMPLE_SumPostDiv_u64_0_0_1v@rel32@hi+12
	s_mov_b64 s[4:5], s[48:49]
	s_mov_b64 s[6:7], s[38:39]
	;; [unrolled: 1-line block ×3, first 2 shown]
	s_mov_b32 s12, s55
	s_mov_b32 s13, s54
	;; [unrolled: 1-line block ×3, first 2 shown]
	v_mov_b32_e32 v31, v40
	s_swappc_b64 s[30:31], s[0:1]
	s_mov_b64 s[0:1], 0
.LBB0_113:                              ;   in Loop: Header=BB0_82 Depth=1
	s_andn2_b64 vcc, exec, s[0:1]
	s_cbranch_vccnz .LBB0_115
; %bb.114:                              ;   in Loop: Header=BB0_82 Depth=1
	s_add_u32 s8, s36, 0x1000
	s_addc_u32 s9, s37, 0
	s_getpc_b64 s[0:1]
	s_add_u32 s0, s0, _Z54ncclDevFunc_AllReduce_RING_SIMPLE_SumPostDiv_u32_1_0_1v@rel32@lo+4
	s_addc_u32 s1, s1, _Z54ncclDevFunc_AllReduce_RING_SIMPLE_SumPostDiv_u32_1_0_1v@rel32@hi+12
	s_mov_b64 s[4:5], s[48:49]
	s_mov_b64 s[6:7], s[38:39]
	;; [unrolled: 1-line block ×3, first 2 shown]
	s_mov_b32 s12, s55
	s_mov_b32 s13, s54
	;; [unrolled: 1-line block ×3, first 2 shown]
	v_mov_b32_e32 v31, v40
	s_swappc_b64 s[30:31], s[0:1]
.LBB0_115:                              ;   in Loop: Header=BB0_82 Depth=1
	s_mov_b64 s[0:1], 0
.LBB0_116:                              ;   in Loop: Header=BB0_82 Depth=1
	s_andn2_b64 vcc, exec, s[0:1]
	s_cbranch_vccnz .LBB0_118
; %bb.117:                              ;   in Loop: Header=BB0_82 Depth=1
	s_add_u32 s8, s36, 0x1000
	s_addc_u32 s9, s37, 0
	s_getpc_b64 s[0:1]
	s_add_u32 s0, s0, _Z54ncclDevFunc_AllReduce_RING_SIMPLE_SumPostDiv_u32_0_0_1v@rel32@lo+4
	s_addc_u32 s1, s1, _Z54ncclDevFunc_AllReduce_RING_SIMPLE_SumPostDiv_u32_0_0_1v@rel32@hi+12
	s_mov_b64 s[4:5], s[48:49]
	s_mov_b64 s[6:7], s[38:39]
	;; [unrolled: 1-line block ×3, first 2 shown]
	s_mov_b32 s12, s55
	s_mov_b32 s13, s54
	;; [unrolled: 1-line block ×3, first 2 shown]
	v_mov_b32_e32 v31, v40
	s_swappc_b64 s[30:31], s[0:1]
.LBB0_118:                              ;   in Loop: Header=BB0_82 Depth=1
	s_mov_b64 s[0:1], 0
.LBB0_119:                              ;   in Loop: Header=BB0_82 Depth=1
	s_andn2_b64 vcc, exec, s[0:1]
	s_cbranch_vccnz .LBB0_139
; %bb.120:                              ;   in Loop: Header=BB0_82 Depth=1
	s_cmpk_gt_u32 s81, 0xa9
	s_mov_b64 s[0:1], -1
	s_cbranch_scc0 .LBB0_130
; %bb.121:                              ;   in Loop: Header=BB0_82 Depth=1
	s_sext_i32_i16 s0, s80
	s_cmpk_lt_i32 s0, 0xab
	s_mov_b64 s[0:1], -1
	s_cbranch_scc1 .LBB0_127
; %bb.122:                              ;   in Loop: Header=BB0_82 Depth=1
	s_cmpk_lg_i32 s81, 0xab
	s_cbranch_scc0 .LBB0_124
; %bb.123:                              ;   in Loop: Header=BB0_82 Depth=1
	s_add_u32 s8, s36, 0x1000
	s_addc_u32 s9, s37, 0
	s_getpc_b64 s[0:1]
	s_add_u32 s0, s0, _Z53ncclDevFunc_AllReduce_RING_SIMPLE_SumPostDiv_u8_1_0_1v@rel32@lo+4
	s_addc_u32 s1, s1, _Z53ncclDevFunc_AllReduce_RING_SIMPLE_SumPostDiv_u8_1_0_1v@rel32@hi+12
	s_mov_b64 s[4:5], s[48:49]
	s_mov_b64 s[6:7], s[38:39]
	;; [unrolled: 1-line block ×3, first 2 shown]
	s_mov_b32 s12, s55
	s_mov_b32 s13, s54
	;; [unrolled: 1-line block ×3, first 2 shown]
	v_mov_b32_e32 v31, v40
	s_swappc_b64 s[30:31], s[0:1]
	s_mov_b64 s[0:1], 0
.LBB0_124:                              ;   in Loop: Header=BB0_82 Depth=1
	s_andn2_b64 vcc, exec, s[0:1]
	s_cbranch_vccnz .LBB0_126
; %bb.125:                              ;   in Loop: Header=BB0_82 Depth=1
	s_add_u32 s8, s36, 0x1000
	s_addc_u32 s9, s37, 0
	s_getpc_b64 s[0:1]
	s_add_u32 s0, s0, _Z53ncclDevFunc_AllReduce_RING_SIMPLE_SumPostDiv_u8_0_0_1v@rel32@lo+4
	s_addc_u32 s1, s1, _Z53ncclDevFunc_AllReduce_RING_SIMPLE_SumPostDiv_u8_0_0_1v@rel32@hi+12
	s_mov_b64 s[4:5], s[48:49]
	s_mov_b64 s[6:7], s[38:39]
	;; [unrolled: 1-line block ×3, first 2 shown]
	s_mov_b32 s12, s55
	s_mov_b32 s13, s54
	;; [unrolled: 1-line block ×3, first 2 shown]
	v_mov_b32_e32 v31, v40
	s_swappc_b64 s[30:31], s[0:1]
.LBB0_126:                              ;   in Loop: Header=BB0_82 Depth=1
	s_mov_b64 s[0:1], 0
.LBB0_127:                              ;   in Loop: Header=BB0_82 Depth=1
	s_andn2_b64 vcc, exec, s[0:1]
	s_cbranch_vccnz .LBB0_129
; %bb.128:                              ;   in Loop: Header=BB0_82 Depth=1
	s_add_u32 s8, s36, 0x1000
	s_addc_u32 s9, s37, 0
	s_getpc_b64 s[0:1]
	s_add_u32 s0, s0, _Z56ncclDevFunc_AllReduce_RING_SIMPLE_PreMulSum_f8e5m2_1_0_1v@rel32@lo+4
	s_addc_u32 s1, s1, _Z56ncclDevFunc_AllReduce_RING_SIMPLE_PreMulSum_f8e5m2_1_0_1v@rel32@hi+12
	s_mov_b64 s[4:5], s[48:49]
	s_mov_b64 s[6:7], s[38:39]
	;; [unrolled: 1-line block ×3, first 2 shown]
	s_mov_b32 s12, s55
	s_mov_b32 s13, s54
	;; [unrolled: 1-line block ×3, first 2 shown]
	v_mov_b32_e32 v31, v40
	s_swappc_b64 s[30:31], s[0:1]
.LBB0_129:                              ;   in Loop: Header=BB0_82 Depth=1
	s_mov_b64 s[0:1], 0
.LBB0_130:                              ;   in Loop: Header=BB0_82 Depth=1
	s_and_b64 vcc, exec, s[0:1]
	s_cbranch_vccz .LBB0_139
; %bb.131:                              ;   in Loop: Header=BB0_82 Depth=1
	s_sext_i32_i16 s0, s80
	s_cmpk_lt_i32 s0, 0xa8
	s_mov_b64 s[0:1], -1
	s_cbranch_scc1 .LBB0_137
; %bb.132:                              ;   in Loop: Header=BB0_82 Depth=1
	s_cmpk_lg_i32 s81, 0xa8
	s_cbranch_scc0 .LBB0_134
; %bb.133:                              ;   in Loop: Header=BB0_82 Depth=1
	s_add_u32 s8, s36, 0x1000
	s_addc_u32 s9, s37, 0
	s_getpc_b64 s[0:1]
	s_add_u32 s0, s0, _Z56ncclDevFunc_AllReduce_RING_SIMPLE_PreMulSum_f8e5m2_0_0_1v@rel32@lo+4
	s_addc_u32 s1, s1, _Z56ncclDevFunc_AllReduce_RING_SIMPLE_PreMulSum_f8e5m2_0_0_1v@rel32@hi+12
	s_mov_b64 s[4:5], s[48:49]
	s_mov_b64 s[6:7], s[38:39]
	s_mov_b64 s[10:11], s[34:35]
	s_mov_b32 s12, s55
	s_mov_b32 s13, s54
	;; [unrolled: 1-line block ×3, first 2 shown]
	v_mov_b32_e32 v31, v40
	s_swappc_b64 s[30:31], s[0:1]
	s_mov_b64 s[0:1], 0
.LBB0_134:                              ;   in Loop: Header=BB0_82 Depth=1
	s_andn2_b64 vcc, exec, s[0:1]
	s_cbranch_vccnz .LBB0_136
; %bb.135:                              ;   in Loop: Header=BB0_82 Depth=1
	s_add_u32 s8, s36, 0x1000
	s_addc_u32 s9, s37, 0
	s_getpc_b64 s[0:1]
	s_add_u32 s0, s0, _Z56ncclDevFunc_AllReduce_RING_SIMPLE_PreMulSum_f8e4m3_1_0_1v@rel32@lo+4
	s_addc_u32 s1, s1, _Z56ncclDevFunc_AllReduce_RING_SIMPLE_PreMulSum_f8e4m3_1_0_1v@rel32@hi+12
	s_mov_b64 s[4:5], s[48:49]
	s_mov_b64 s[6:7], s[38:39]
	s_mov_b64 s[10:11], s[34:35]
	s_mov_b32 s12, s55
	s_mov_b32 s13, s54
	s_mov_b32 s14, s33
	v_mov_b32_e32 v31, v40
	s_swappc_b64 s[30:31], s[0:1]
.LBB0_136:                              ;   in Loop: Header=BB0_82 Depth=1
	s_mov_b64 s[0:1], 0
.LBB0_137:                              ;   in Loop: Header=BB0_82 Depth=1
	s_andn2_b64 vcc, exec, s[0:1]
	s_cbranch_vccnz .LBB0_139
; %bb.138:                              ;   in Loop: Header=BB0_82 Depth=1
	s_add_u32 s8, s36, 0x1000
	s_addc_u32 s9, s37, 0
	s_getpc_b64 s[0:1]
	s_add_u32 s0, s0, _Z56ncclDevFunc_AllReduce_RING_SIMPLE_PreMulSum_f8e4m3_0_0_1v@rel32@lo+4
	s_addc_u32 s1, s1, _Z56ncclDevFunc_AllReduce_RING_SIMPLE_PreMulSum_f8e4m3_0_0_1v@rel32@hi+12
	s_mov_b64 s[4:5], s[48:49]
	s_mov_b64 s[6:7], s[38:39]
	;; [unrolled: 1-line block ×3, first 2 shown]
	s_mov_b32 s12, s55
	s_mov_b32 s13, s54
	;; [unrolled: 1-line block ×3, first 2 shown]
	v_mov_b32_e32 v31, v40
	s_swappc_b64 s[30:31], s[0:1]
.LBB0_139:                              ;   in Loop: Header=BB0_82 Depth=1
	s_mov_b64 s[0:1], 0
.LBB0_140:                              ;   in Loop: Header=BB0_82 Depth=1
	s_andn2_b64 vcc, exec, s[0:1]
	s_cbranch_vccnz .LBB0_178
; %bb.141:                              ;   in Loop: Header=BB0_82 Depth=1
	s_cmpk_gt_u32 s81, 0xa0
	s_mov_b64 s[0:1], -1
	s_cbranch_scc0 .LBB0_162
; %bb.142:                              ;   in Loop: Header=BB0_82 Depth=1
	s_cmpk_gt_u32 s81, 0xa3
	s_cbranch_scc0 .LBB0_152
; %bb.143:                              ;   in Loop: Header=BB0_82 Depth=1
	s_sext_i32_i16 s0, s80
	s_cmpk_lt_i32 s0, 0xa5
	s_mov_b64 s[0:1], -1
	s_cbranch_scc1 .LBB0_149
; %bb.144:                              ;   in Loop: Header=BB0_82 Depth=1
	s_cmpk_lg_i32 s81, 0xa5
	s_cbranch_scc0 .LBB0_146
; %bb.145:                              ;   in Loop: Header=BB0_82 Depth=1
	s_add_u32 s8, s36, 0x1000
	s_addc_u32 s9, s37, 0
	s_getpc_b64 s[0:1]
	s_add_u32 s0, s0, _Z54ncclDevFunc_AllReduce_RING_SIMPLE_PreMulSum_bf16_1_1_1v@rel32@lo+4
	s_addc_u32 s1, s1, _Z54ncclDevFunc_AllReduce_RING_SIMPLE_PreMulSum_bf16_1_1_1v@rel32@hi+12
	s_mov_b64 s[4:5], s[48:49]
	s_mov_b64 s[6:7], s[38:39]
	;; [unrolled: 1-line block ×3, first 2 shown]
	s_mov_b32 s12, s55
	s_mov_b32 s13, s54
	;; [unrolled: 1-line block ×3, first 2 shown]
	v_mov_b32_e32 v31, v40
	s_swappc_b64 s[30:31], s[0:1]
	s_mov_b64 s[0:1], 0
.LBB0_146:                              ;   in Loop: Header=BB0_82 Depth=1
	s_andn2_b64 vcc, exec, s[0:1]
	s_cbranch_vccnz .LBB0_148
; %bb.147:                              ;   in Loop: Header=BB0_82 Depth=1
	s_add_u32 s8, s36, 0x1000
	s_addc_u32 s9, s37, 0
	s_getpc_b64 s[0:1]
	s_add_u32 s0, s0, _Z54ncclDevFunc_AllReduce_RING_SIMPLE_PreMulSum_bf16_1_0_1v@rel32@lo+4
	s_addc_u32 s1, s1, _Z54ncclDevFunc_AllReduce_RING_SIMPLE_PreMulSum_bf16_1_0_1v@rel32@hi+12
	s_mov_b64 s[4:5], s[48:49]
	s_mov_b64 s[6:7], s[38:39]
	;; [unrolled: 1-line block ×3, first 2 shown]
	s_mov_b32 s12, s55
	s_mov_b32 s13, s54
	;; [unrolled: 1-line block ×3, first 2 shown]
	v_mov_b32_e32 v31, v40
	s_swappc_b64 s[30:31], s[0:1]
.LBB0_148:                              ;   in Loop: Header=BB0_82 Depth=1
	s_mov_b64 s[0:1], 0
.LBB0_149:                              ;   in Loop: Header=BB0_82 Depth=1
	s_andn2_b64 vcc, exec, s[0:1]
	s_cbranch_vccnz .LBB0_151
; %bb.150:                              ;   in Loop: Header=BB0_82 Depth=1
	s_add_u32 s8, s36, 0x1000
	s_addc_u32 s9, s37, 0
	s_getpc_b64 s[0:1]
	s_add_u32 s0, s0, _Z54ncclDevFunc_AllReduce_RING_SIMPLE_PreMulSum_bf16_0_1_1v@rel32@lo+4
	s_addc_u32 s1, s1, _Z54ncclDevFunc_AllReduce_RING_SIMPLE_PreMulSum_bf16_0_1_1v@rel32@hi+12
	s_mov_b64 s[4:5], s[48:49]
	s_mov_b64 s[6:7], s[38:39]
	;; [unrolled: 1-line block ×3, first 2 shown]
	s_mov_b32 s12, s55
	s_mov_b32 s13, s54
	;; [unrolled: 1-line block ×3, first 2 shown]
	v_mov_b32_e32 v31, v40
	s_swappc_b64 s[30:31], s[0:1]
.LBB0_151:                              ;   in Loop: Header=BB0_82 Depth=1
	s_mov_b64 s[0:1], 0
.LBB0_152:                              ;   in Loop: Header=BB0_82 Depth=1
	s_and_b64 vcc, exec, s[0:1]
	s_cbranch_vccz .LBB0_161
; %bb.153:                              ;   in Loop: Header=BB0_82 Depth=1
	s_sext_i32_i16 s0, s80
	s_cmpk_lt_i32 s0, 0xa2
	s_mov_b64 s[0:1], -1
	s_cbranch_scc1 .LBB0_159
; %bb.154:                              ;   in Loop: Header=BB0_82 Depth=1
	s_cmpk_lg_i32 s81, 0xa2
	s_cbranch_scc0 .LBB0_156
; %bb.155:                              ;   in Loop: Header=BB0_82 Depth=1
	s_add_u32 s8, s36, 0x1000
	s_addc_u32 s9, s37, 0
	s_getpc_b64 s[0:1]
	s_add_u32 s0, s0, _Z54ncclDevFunc_AllReduce_RING_SIMPLE_PreMulSum_bf16_0_0_1v@rel32@lo+4
	s_addc_u32 s1, s1, _Z54ncclDevFunc_AllReduce_RING_SIMPLE_PreMulSum_bf16_0_0_1v@rel32@hi+12
	s_mov_b64 s[4:5], s[48:49]
	s_mov_b64 s[6:7], s[38:39]
	s_mov_b64 s[10:11], s[34:35]
	s_mov_b32 s12, s55
	s_mov_b32 s13, s54
	;; [unrolled: 1-line block ×3, first 2 shown]
	v_mov_b32_e32 v31, v40
	s_swappc_b64 s[30:31], s[0:1]
	s_mov_b64 s[0:1], 0
.LBB0_156:                              ;   in Loop: Header=BB0_82 Depth=1
	s_andn2_b64 vcc, exec, s[0:1]
	s_cbranch_vccnz .LBB0_158
; %bb.157:                              ;   in Loop: Header=BB0_82 Depth=1
	s_add_u32 s8, s36, 0x1000
	s_addc_u32 s9, s37, 0
	s_getpc_b64 s[0:1]
	s_add_u32 s0, s0, _Z53ncclDevFunc_AllReduce_RING_SIMPLE_PreMulSum_f64_1_0_1v@rel32@lo+4
	s_addc_u32 s1, s1, _Z53ncclDevFunc_AllReduce_RING_SIMPLE_PreMulSum_f64_1_0_1v@rel32@hi+12
	s_mov_b64 s[4:5], s[48:49]
	s_mov_b64 s[6:7], s[38:39]
	;; [unrolled: 1-line block ×3, first 2 shown]
	s_mov_b32 s12, s55
	s_mov_b32 s13, s54
	;; [unrolled: 1-line block ×3, first 2 shown]
	v_mov_b32_e32 v31, v40
	s_swappc_b64 s[30:31], s[0:1]
.LBB0_158:                              ;   in Loop: Header=BB0_82 Depth=1
	s_mov_b64 s[0:1], 0
.LBB0_159:                              ;   in Loop: Header=BB0_82 Depth=1
	s_andn2_b64 vcc, exec, s[0:1]
	s_cbranch_vccnz .LBB0_161
; %bb.160:                              ;   in Loop: Header=BB0_82 Depth=1
	s_add_u32 s8, s36, 0x1000
	s_addc_u32 s9, s37, 0
	s_getpc_b64 s[0:1]
	s_add_u32 s0, s0, _Z53ncclDevFunc_AllReduce_RING_SIMPLE_PreMulSum_f64_0_0_1v@rel32@lo+4
	s_addc_u32 s1, s1, _Z53ncclDevFunc_AllReduce_RING_SIMPLE_PreMulSum_f64_0_0_1v@rel32@hi+12
	s_mov_b64 s[4:5], s[48:49]
	s_mov_b64 s[6:7], s[38:39]
	;; [unrolled: 1-line block ×3, first 2 shown]
	s_mov_b32 s12, s55
	s_mov_b32 s13, s54
	s_mov_b32 s14, s33
	v_mov_b32_e32 v31, v40
	s_swappc_b64 s[30:31], s[0:1]
.LBB0_161:                              ;   in Loop: Header=BB0_82 Depth=1
	s_mov_b64 s[0:1], 0
.LBB0_162:                              ;   in Loop: Header=BB0_82 Depth=1
	s_andn2_b64 vcc, exec, s[0:1]
	s_cbranch_vccnz .LBB0_178
; %bb.163:                              ;   in Loop: Header=BB0_82 Depth=1
	s_cmpk_gt_u32 s81, 0x9d
	s_mov_b64 s[0:1], -1
	s_cbranch_scc0 .LBB0_173
; %bb.164:                              ;   in Loop: Header=BB0_82 Depth=1
	s_sext_i32_i16 s0, s80
	s_cmpk_lt_i32 s0, 0x9f
	s_mov_b64 s[0:1], -1
	s_cbranch_scc1 .LBB0_170
; %bb.165:                              ;   in Loop: Header=BB0_82 Depth=1
	s_cmpk_lg_i32 s81, 0x9f
	s_cbranch_scc0 .LBB0_167
; %bb.166:                              ;   in Loop: Header=BB0_82 Depth=1
	s_add_u32 s8, s36, 0x1000
	s_addc_u32 s9, s37, 0
	s_getpc_b64 s[0:1]
	s_add_u32 s0, s0, _Z53ncclDevFunc_AllReduce_RING_SIMPLE_PreMulSum_f32_1_0_1v@rel32@lo+4
	s_addc_u32 s1, s1, _Z53ncclDevFunc_AllReduce_RING_SIMPLE_PreMulSum_f32_1_0_1v@rel32@hi+12
	s_mov_b64 s[4:5], s[48:49]
	s_mov_b64 s[6:7], s[38:39]
	s_mov_b64 s[10:11], s[34:35]
	s_mov_b32 s12, s55
	s_mov_b32 s13, s54
	;; [unrolled: 1-line block ×3, first 2 shown]
	v_mov_b32_e32 v31, v40
	s_swappc_b64 s[30:31], s[0:1]
	s_mov_b64 s[0:1], 0
.LBB0_167:                              ;   in Loop: Header=BB0_82 Depth=1
	s_andn2_b64 vcc, exec, s[0:1]
	s_cbranch_vccnz .LBB0_169
; %bb.168:                              ;   in Loop: Header=BB0_82 Depth=1
	s_add_u32 s8, s36, 0x1000
	s_addc_u32 s9, s37, 0
	s_getpc_b64 s[0:1]
	s_add_u32 s0, s0, _Z53ncclDevFunc_AllReduce_RING_SIMPLE_PreMulSum_f32_0_0_1v@rel32@lo+4
	s_addc_u32 s1, s1, _Z53ncclDevFunc_AllReduce_RING_SIMPLE_PreMulSum_f32_0_0_1v@rel32@hi+12
	s_mov_b64 s[4:5], s[48:49]
	s_mov_b64 s[6:7], s[38:39]
	;; [unrolled: 1-line block ×3, first 2 shown]
	s_mov_b32 s12, s55
	s_mov_b32 s13, s54
	;; [unrolled: 1-line block ×3, first 2 shown]
	v_mov_b32_e32 v31, v40
	s_swappc_b64 s[30:31], s[0:1]
.LBB0_169:                              ;   in Loop: Header=BB0_82 Depth=1
	s_mov_b64 s[0:1], 0
.LBB0_170:                              ;   in Loop: Header=BB0_82 Depth=1
	s_andn2_b64 vcc, exec, s[0:1]
	s_cbranch_vccnz .LBB0_172
; %bb.171:                              ;   in Loop: Header=BB0_82 Depth=1
	s_add_u32 s8, s36, 0x1000
	s_addc_u32 s9, s37, 0
	s_getpc_b64 s[0:1]
	s_add_u32 s0, s0, _Z53ncclDevFunc_AllReduce_RING_SIMPLE_PreMulSum_f16_1_0_1v@rel32@lo+4
	s_addc_u32 s1, s1, _Z53ncclDevFunc_AllReduce_RING_SIMPLE_PreMulSum_f16_1_0_1v@rel32@hi+12
	s_mov_b64 s[4:5], s[48:49]
	s_mov_b64 s[6:7], s[38:39]
	;; [unrolled: 1-line block ×3, first 2 shown]
	s_mov_b32 s12, s55
	s_mov_b32 s13, s54
	;; [unrolled: 1-line block ×3, first 2 shown]
	v_mov_b32_e32 v31, v40
	s_swappc_b64 s[30:31], s[0:1]
.LBB0_172:                              ;   in Loop: Header=BB0_82 Depth=1
	s_mov_b64 s[0:1], 0
.LBB0_173:                              ;   in Loop: Header=BB0_82 Depth=1
	s_and_b64 vcc, exec, s[0:1]
	s_cbranch_vccz .LBB0_178
; %bb.174:                              ;   in Loop: Header=BB0_82 Depth=1
	s_cmpk_eq_i32 s81, 0x9d
	s_mov_b64 s[0:1], -1
	s_cbranch_scc1 .LBB0_176
; %bb.175:                              ;   in Loop: Header=BB0_82 Depth=1
	s_add_u32 s8, s36, 0x1000
	s_addc_u32 s9, s37, 0
	s_getpc_b64 s[0:1]
	s_add_u32 s0, s0, _Z53ncclDevFunc_AllReduce_RING_SIMPLE_PreMulSum_u64_1_0_1v@rel32@lo+4
	s_addc_u32 s1, s1, _Z53ncclDevFunc_AllReduce_RING_SIMPLE_PreMulSum_u64_1_0_1v@rel32@hi+12
	s_mov_b64 s[4:5], s[48:49]
	s_mov_b64 s[6:7], s[38:39]
	;; [unrolled: 1-line block ×3, first 2 shown]
	s_mov_b32 s12, s55
	s_mov_b32 s13, s54
	;; [unrolled: 1-line block ×3, first 2 shown]
	v_mov_b32_e32 v31, v40
	s_swappc_b64 s[30:31], s[0:1]
	s_mov_b64 s[0:1], 0
.LBB0_176:                              ;   in Loop: Header=BB0_82 Depth=1
	s_andn2_b64 vcc, exec, s[0:1]
	s_cbranch_vccnz .LBB0_178
; %bb.177:                              ;   in Loop: Header=BB0_82 Depth=1
	s_add_u32 s8, s36, 0x1000
	s_addc_u32 s9, s37, 0
	s_getpc_b64 s[0:1]
	s_add_u32 s0, s0, _Z53ncclDevFunc_AllReduce_RING_SIMPLE_PreMulSum_f16_0_0_1v@rel32@lo+4
	s_addc_u32 s1, s1, _Z53ncclDevFunc_AllReduce_RING_SIMPLE_PreMulSum_f16_0_0_1v@rel32@hi+12
	s_mov_b64 s[4:5], s[48:49]
	s_mov_b64 s[6:7], s[38:39]
	;; [unrolled: 1-line block ×3, first 2 shown]
	s_mov_b32 s12, s55
	s_mov_b32 s13, s54
	;; [unrolled: 1-line block ×3, first 2 shown]
	v_mov_b32_e32 v31, v40
	s_swappc_b64 s[30:31], s[0:1]
.LBB0_178:                              ;   in Loop: Header=BB0_82 Depth=1
	s_mov_b64 s[0:1], 0
.LBB0_179:                              ;   in Loop: Header=BB0_82 Depth=1
	s_andn2_b64 vcc, exec, s[0:1]
	s_cbranch_vccnz .LBB0_257
; %bb.180:                              ;   in Loop: Header=BB0_82 Depth=1
	s_cmpk_gt_u32 s81, 0x90
	s_mov_b64 s[0:1], -1
	s_cbranch_scc0 .LBB0_219
; %bb.181:                              ;   in Loop: Header=BB0_82 Depth=1
	s_cmpk_gt_u32 s81, 0x95
	s_cbranch_scc0 .LBB0_202
; %bb.182:                              ;   in Loop: Header=BB0_82 Depth=1
	s_cmpk_gt_u32 s81, 0x98
	s_cbranch_scc0 .LBB0_192
; %bb.183:                              ;   in Loop: Header=BB0_82 Depth=1
	s_sext_i32_i16 s0, s80
	s_cmpk_lt_i32 s0, 0x9a
	s_mov_b64 s[0:1], -1
	s_cbranch_scc1 .LBB0_189
; %bb.184:                              ;   in Loop: Header=BB0_82 Depth=1
	s_cmpk_lg_i32 s81, 0x9a
	s_cbranch_scc0 .LBB0_186
; %bb.185:                              ;   in Loop: Header=BB0_82 Depth=1
	s_add_u32 s8, s36, 0x1000
	s_addc_u32 s9, s37, 0
	s_getpc_b64 s[0:1]
	s_add_u32 s0, s0, _Z53ncclDevFunc_AllReduce_RING_SIMPLE_PreMulSum_u64_0_0_1v@rel32@lo+4
	s_addc_u32 s1, s1, _Z53ncclDevFunc_AllReduce_RING_SIMPLE_PreMulSum_u64_0_0_1v@rel32@hi+12
	s_mov_b64 s[4:5], s[48:49]
	s_mov_b64 s[6:7], s[38:39]
	;; [unrolled: 1-line block ×3, first 2 shown]
	s_mov_b32 s12, s55
	s_mov_b32 s13, s54
	;; [unrolled: 1-line block ×3, first 2 shown]
	v_mov_b32_e32 v31, v40
	s_swappc_b64 s[30:31], s[0:1]
	s_mov_b64 s[0:1], 0
.LBB0_186:                              ;   in Loop: Header=BB0_82 Depth=1
	s_andn2_b64 vcc, exec, s[0:1]
	s_cbranch_vccnz .LBB0_188
; %bb.187:                              ;   in Loop: Header=BB0_82 Depth=1
	s_add_u32 s8, s36, 0x1000
	s_addc_u32 s9, s37, 0
	s_getpc_b64 s[0:1]
	s_add_u32 s0, s0, _Z53ncclDevFunc_AllReduce_RING_SIMPLE_PreMulSum_u32_1_0_1v@rel32@lo+4
	s_addc_u32 s1, s1, _Z53ncclDevFunc_AllReduce_RING_SIMPLE_PreMulSum_u32_1_0_1v@rel32@hi+12
	s_mov_b64 s[4:5], s[48:49]
	s_mov_b64 s[6:7], s[38:39]
	;; [unrolled: 1-line block ×3, first 2 shown]
	s_mov_b32 s12, s55
	s_mov_b32 s13, s54
	;; [unrolled: 1-line block ×3, first 2 shown]
	v_mov_b32_e32 v31, v40
	s_swappc_b64 s[30:31], s[0:1]
.LBB0_188:                              ;   in Loop: Header=BB0_82 Depth=1
	s_mov_b64 s[0:1], 0
.LBB0_189:                              ;   in Loop: Header=BB0_82 Depth=1
	s_andn2_b64 vcc, exec, s[0:1]
	s_cbranch_vccnz .LBB0_191
; %bb.190:                              ;   in Loop: Header=BB0_82 Depth=1
	s_add_u32 s8, s36, 0x1000
	s_addc_u32 s9, s37, 0
	s_getpc_b64 s[0:1]
	s_add_u32 s0, s0, _Z53ncclDevFunc_AllReduce_RING_SIMPLE_PreMulSum_u32_0_0_1v@rel32@lo+4
	s_addc_u32 s1, s1, _Z53ncclDevFunc_AllReduce_RING_SIMPLE_PreMulSum_u32_0_0_1v@rel32@hi+12
	s_mov_b64 s[4:5], s[48:49]
	s_mov_b64 s[6:7], s[38:39]
	;; [unrolled: 1-line block ×3, first 2 shown]
	s_mov_b32 s12, s55
	s_mov_b32 s13, s54
	;; [unrolled: 1-line block ×3, first 2 shown]
	v_mov_b32_e32 v31, v40
	s_swappc_b64 s[30:31], s[0:1]
.LBB0_191:                              ;   in Loop: Header=BB0_82 Depth=1
	s_mov_b64 s[0:1], 0
.LBB0_192:                              ;   in Loop: Header=BB0_82 Depth=1
	s_and_b64 vcc, exec, s[0:1]
	s_cbranch_vccz .LBB0_201
; %bb.193:                              ;   in Loop: Header=BB0_82 Depth=1
	s_sext_i32_i16 s0, s80
	s_cmpk_lt_i32 s0, 0x97
	s_mov_b64 s[0:1], -1
	s_cbranch_scc1 .LBB0_199
; %bb.194:                              ;   in Loop: Header=BB0_82 Depth=1
	s_cmpk_lg_i32 s81, 0x97
	s_cbranch_scc0 .LBB0_196
; %bb.195:                              ;   in Loop: Header=BB0_82 Depth=1
	s_add_u32 s8, s36, 0x1000
	s_addc_u32 s9, s37, 0
	s_getpc_b64 s[0:1]
	s_add_u32 s0, s0, _Z52ncclDevFunc_AllReduce_RING_SIMPLE_PreMulSum_u8_1_0_1v@rel32@lo+4
	s_addc_u32 s1, s1, _Z52ncclDevFunc_AllReduce_RING_SIMPLE_PreMulSum_u8_1_0_1v@rel32@hi+12
	s_mov_b64 s[4:5], s[48:49]
	s_mov_b64 s[6:7], s[38:39]
	;; [unrolled: 1-line block ×3, first 2 shown]
	s_mov_b32 s12, s55
	s_mov_b32 s13, s54
	;; [unrolled: 1-line block ×3, first 2 shown]
	v_mov_b32_e32 v31, v40
	s_swappc_b64 s[30:31], s[0:1]
	s_mov_b64 s[0:1], 0
.LBB0_196:                              ;   in Loop: Header=BB0_82 Depth=1
	s_andn2_b64 vcc, exec, s[0:1]
	s_cbranch_vccnz .LBB0_198
; %bb.197:                              ;   in Loop: Header=BB0_82 Depth=1
	s_add_u32 s8, s36, 0x1000
	s_addc_u32 s9, s37, 0
	s_getpc_b64 s[0:1]
	s_add_u32 s0, s0, _Z52ncclDevFunc_AllReduce_RING_SIMPLE_PreMulSum_u8_0_0_1v@rel32@lo+4
	s_addc_u32 s1, s1, _Z52ncclDevFunc_AllReduce_RING_SIMPLE_PreMulSum_u8_0_0_1v@rel32@hi+12
	s_mov_b64 s[4:5], s[48:49]
	s_mov_b64 s[6:7], s[38:39]
	;; [unrolled: 1-line block ×3, first 2 shown]
	s_mov_b32 s12, s55
	s_mov_b32 s13, s54
	;; [unrolled: 1-line block ×3, first 2 shown]
	v_mov_b32_e32 v31, v40
	s_swappc_b64 s[30:31], s[0:1]
.LBB0_198:                              ;   in Loop: Header=BB0_82 Depth=1
	s_mov_b64 s[0:1], 0
.LBB0_199:                              ;   in Loop: Header=BB0_82 Depth=1
	s_andn2_b64 vcc, exec, s[0:1]
	s_cbranch_vccnz .LBB0_201
; %bb.200:                              ;   in Loop: Header=BB0_82 Depth=1
	s_add_u32 s8, s36, 0x1000
	s_addc_u32 s9, s37, 0
	s_getpc_b64 s[0:1]
	s_add_u32 s0, s0, _Z53ncclDevFunc_AllReduce_RING_SIMPLE_MinMax_f8e5m2_1_0_1v@rel32@lo+4
	s_addc_u32 s1, s1, _Z53ncclDevFunc_AllReduce_RING_SIMPLE_MinMax_f8e5m2_1_0_1v@rel32@hi+12
	s_mov_b64 s[4:5], s[48:49]
	s_mov_b64 s[6:7], s[38:39]
	s_mov_b64 s[10:11], s[34:35]
	s_mov_b32 s12, s55
	s_mov_b32 s13, s54
	;; [unrolled: 1-line block ×3, first 2 shown]
	v_mov_b32_e32 v31, v40
	s_swappc_b64 s[30:31], s[0:1]
.LBB0_201:                              ;   in Loop: Header=BB0_82 Depth=1
	s_mov_b64 s[0:1], 0
.LBB0_202:                              ;   in Loop: Header=BB0_82 Depth=1
	s_andn2_b64 vcc, exec, s[0:1]
	s_cbranch_vccnz .LBB0_218
; %bb.203:                              ;   in Loop: Header=BB0_82 Depth=1
	s_cmpk_gt_u32 s81, 0x92
	s_mov_b64 s[0:1], -1
	s_cbranch_scc0 .LBB0_213
; %bb.204:                              ;   in Loop: Header=BB0_82 Depth=1
	s_sext_i32_i16 s0, s80
	s_cmpk_lt_i32 s0, 0x94
	s_mov_b64 s[0:1], -1
	s_cbranch_scc1 .LBB0_210
; %bb.205:                              ;   in Loop: Header=BB0_82 Depth=1
	s_cmpk_lg_i32 s81, 0x94
	s_cbranch_scc0 .LBB0_207
; %bb.206:                              ;   in Loop: Header=BB0_82 Depth=1
	s_add_u32 s8, s36, 0x1000
	s_addc_u32 s9, s37, 0
	s_getpc_b64 s[0:1]
	s_add_u32 s0, s0, _Z53ncclDevFunc_AllReduce_RING_SIMPLE_MinMax_f8e5m2_0_0_1v@rel32@lo+4
	s_addc_u32 s1, s1, _Z53ncclDevFunc_AllReduce_RING_SIMPLE_MinMax_f8e5m2_0_0_1v@rel32@hi+12
	s_mov_b64 s[4:5], s[48:49]
	s_mov_b64 s[6:7], s[38:39]
	;; [unrolled: 1-line block ×3, first 2 shown]
	s_mov_b32 s12, s55
	s_mov_b32 s13, s54
	;; [unrolled: 1-line block ×3, first 2 shown]
	v_mov_b32_e32 v31, v40
	s_swappc_b64 s[30:31], s[0:1]
	s_mov_b64 s[0:1], 0
.LBB0_207:                              ;   in Loop: Header=BB0_82 Depth=1
	s_andn2_b64 vcc, exec, s[0:1]
	s_cbranch_vccnz .LBB0_209
; %bb.208:                              ;   in Loop: Header=BB0_82 Depth=1
	s_add_u32 s8, s36, 0x1000
	s_addc_u32 s9, s37, 0
	s_getpc_b64 s[0:1]
	s_add_u32 s0, s0, _Z53ncclDevFunc_AllReduce_RING_SIMPLE_MinMax_f8e4m3_1_0_1v@rel32@lo+4
	s_addc_u32 s1, s1, _Z53ncclDevFunc_AllReduce_RING_SIMPLE_MinMax_f8e4m3_1_0_1v@rel32@hi+12
	s_mov_b64 s[4:5], s[48:49]
	s_mov_b64 s[6:7], s[38:39]
	;; [unrolled: 1-line block ×3, first 2 shown]
	s_mov_b32 s12, s55
	s_mov_b32 s13, s54
	;; [unrolled: 1-line block ×3, first 2 shown]
	v_mov_b32_e32 v31, v40
	s_swappc_b64 s[30:31], s[0:1]
.LBB0_209:                              ;   in Loop: Header=BB0_82 Depth=1
	s_mov_b64 s[0:1], 0
.LBB0_210:                              ;   in Loop: Header=BB0_82 Depth=1
	s_andn2_b64 vcc, exec, s[0:1]
	s_cbranch_vccnz .LBB0_212
; %bb.211:                              ;   in Loop: Header=BB0_82 Depth=1
	s_add_u32 s8, s36, 0x1000
	s_addc_u32 s9, s37, 0
	s_getpc_b64 s[0:1]
	s_add_u32 s0, s0, _Z53ncclDevFunc_AllReduce_RING_SIMPLE_MinMax_f8e4m3_0_0_1v@rel32@lo+4
	s_addc_u32 s1, s1, _Z53ncclDevFunc_AllReduce_RING_SIMPLE_MinMax_f8e4m3_0_0_1v@rel32@hi+12
	s_mov_b64 s[4:5], s[48:49]
	s_mov_b64 s[6:7], s[38:39]
	;; [unrolled: 1-line block ×3, first 2 shown]
	s_mov_b32 s12, s55
	s_mov_b32 s13, s54
	;; [unrolled: 1-line block ×3, first 2 shown]
	v_mov_b32_e32 v31, v40
	s_swappc_b64 s[30:31], s[0:1]
.LBB0_212:                              ;   in Loop: Header=BB0_82 Depth=1
	s_mov_b64 s[0:1], 0
.LBB0_213:                              ;   in Loop: Header=BB0_82 Depth=1
	s_and_b64 vcc, exec, s[0:1]
	s_cbranch_vccz .LBB0_218
; %bb.214:                              ;   in Loop: Header=BB0_82 Depth=1
	s_cmpk_eq_i32 s81, 0x92
	s_mov_b64 s[0:1], -1
	s_cbranch_scc1 .LBB0_216
; %bb.215:                              ;   in Loop: Header=BB0_82 Depth=1
	s_add_u32 s8, s36, 0x1000
	s_addc_u32 s9, s37, 0
	s_getpc_b64 s[0:1]
	s_add_u32 s0, s0, _Z51ncclDevFunc_AllReduce_RING_SIMPLE_MinMax_bf16_1_0_1v@rel32@lo+4
	s_addc_u32 s1, s1, _Z51ncclDevFunc_AllReduce_RING_SIMPLE_MinMax_bf16_1_0_1v@rel32@hi+12
	s_mov_b64 s[4:5], s[48:49]
	s_mov_b64 s[6:7], s[38:39]
	;; [unrolled: 1-line block ×3, first 2 shown]
	s_mov_b32 s12, s55
	s_mov_b32 s13, s54
	;; [unrolled: 1-line block ×3, first 2 shown]
	v_mov_b32_e32 v31, v40
	s_swappc_b64 s[30:31], s[0:1]
	s_mov_b64 s[0:1], 0
.LBB0_216:                              ;   in Loop: Header=BB0_82 Depth=1
	s_andn2_b64 vcc, exec, s[0:1]
	s_cbranch_vccnz .LBB0_218
; %bb.217:                              ;   in Loop: Header=BB0_82 Depth=1
	s_add_u32 s8, s36, 0x1000
	s_addc_u32 s9, s37, 0
	s_getpc_b64 s[0:1]
	s_add_u32 s0, s0, _Z51ncclDevFunc_AllReduce_RING_SIMPLE_MinMax_bf16_1_1_1v@rel32@lo+4
	s_addc_u32 s1, s1, _Z51ncclDevFunc_AllReduce_RING_SIMPLE_MinMax_bf16_1_1_1v@rel32@hi+12
	s_mov_b64 s[4:5], s[48:49]
	s_mov_b64 s[6:7], s[38:39]
	;; [unrolled: 1-line block ×3, first 2 shown]
	s_mov_b32 s12, s55
	s_mov_b32 s13, s54
	;; [unrolled: 1-line block ×3, first 2 shown]
	v_mov_b32_e32 v31, v40
	s_swappc_b64 s[30:31], s[0:1]
.LBB0_218:                              ;   in Loop: Header=BB0_82 Depth=1
	s_mov_b64 s[0:1], 0
.LBB0_219:                              ;   in Loop: Header=BB0_82 Depth=1
	s_andn2_b64 vcc, exec, s[0:1]
	s_cbranch_vccnz .LBB0_257
; %bb.220:                              ;   in Loop: Header=BB0_82 Depth=1
	s_cmpk_gt_u32 s81, 0x8a
	s_mov_b64 s[0:1], -1
	s_cbranch_scc0 .LBB0_241
; %bb.221:                              ;   in Loop: Header=BB0_82 Depth=1
	s_cmpk_gt_u32 s81, 0x8d
	s_cbranch_scc0 .LBB0_231
; %bb.222:                              ;   in Loop: Header=BB0_82 Depth=1
	s_sext_i32_i16 s0, s80
	s_cmpk_lt_i32 s0, 0x8f
	s_mov_b64 s[0:1], -1
	s_cbranch_scc1 .LBB0_228
; %bb.223:                              ;   in Loop: Header=BB0_82 Depth=1
	s_cmpk_lg_i32 s81, 0x8f
	s_cbranch_scc0 .LBB0_225
; %bb.224:                              ;   in Loop: Header=BB0_82 Depth=1
	s_add_u32 s8, s36, 0x1000
	s_addc_u32 s9, s37, 0
	s_getpc_b64 s[0:1]
	s_add_u32 s0, s0, _Z51ncclDevFunc_AllReduce_RING_SIMPLE_MinMax_bf16_0_1_1v@rel32@lo+4
	s_addc_u32 s1, s1, _Z51ncclDevFunc_AllReduce_RING_SIMPLE_MinMax_bf16_0_1_1v@rel32@hi+12
	s_mov_b64 s[4:5], s[48:49]
	s_mov_b64 s[6:7], s[38:39]
	;; [unrolled: 1-line block ×3, first 2 shown]
	s_mov_b32 s12, s55
	s_mov_b32 s13, s54
	;; [unrolled: 1-line block ×3, first 2 shown]
	v_mov_b32_e32 v31, v40
	s_swappc_b64 s[30:31], s[0:1]
	s_mov_b64 s[0:1], 0
.LBB0_225:                              ;   in Loop: Header=BB0_82 Depth=1
	s_andn2_b64 vcc, exec, s[0:1]
	s_cbranch_vccnz .LBB0_227
; %bb.226:                              ;   in Loop: Header=BB0_82 Depth=1
	s_add_u32 s8, s36, 0x1000
	s_addc_u32 s9, s37, 0
	s_getpc_b64 s[0:1]
	s_add_u32 s0, s0, _Z51ncclDevFunc_AllReduce_RING_SIMPLE_MinMax_bf16_0_0_1v@rel32@lo+4
	s_addc_u32 s1, s1, _Z51ncclDevFunc_AllReduce_RING_SIMPLE_MinMax_bf16_0_0_1v@rel32@hi+12
	s_mov_b64 s[4:5], s[48:49]
	s_mov_b64 s[6:7], s[38:39]
	;; [unrolled: 1-line block ×3, first 2 shown]
	s_mov_b32 s12, s55
	s_mov_b32 s13, s54
	;; [unrolled: 1-line block ×3, first 2 shown]
	v_mov_b32_e32 v31, v40
	s_swappc_b64 s[30:31], s[0:1]
.LBB0_227:                              ;   in Loop: Header=BB0_82 Depth=1
	s_mov_b64 s[0:1], 0
.LBB0_228:                              ;   in Loop: Header=BB0_82 Depth=1
	s_andn2_b64 vcc, exec, s[0:1]
	s_cbranch_vccnz .LBB0_230
; %bb.229:                              ;   in Loop: Header=BB0_82 Depth=1
	s_add_u32 s8, s36, 0x1000
	s_addc_u32 s9, s37, 0
	s_getpc_b64 s[0:1]
	s_add_u32 s0, s0, _Z50ncclDevFunc_AllReduce_RING_SIMPLE_MinMax_f64_1_0_1v@rel32@lo+4
	s_addc_u32 s1, s1, _Z50ncclDevFunc_AllReduce_RING_SIMPLE_MinMax_f64_1_0_1v@rel32@hi+12
	s_mov_b64 s[4:5], s[48:49]
	s_mov_b64 s[6:7], s[38:39]
	;; [unrolled: 1-line block ×3, first 2 shown]
	s_mov_b32 s12, s55
	s_mov_b32 s13, s54
	;; [unrolled: 1-line block ×3, first 2 shown]
	v_mov_b32_e32 v31, v40
	s_swappc_b64 s[30:31], s[0:1]
.LBB0_230:                              ;   in Loop: Header=BB0_82 Depth=1
	s_mov_b64 s[0:1], 0
.LBB0_231:                              ;   in Loop: Header=BB0_82 Depth=1
	s_and_b64 vcc, exec, s[0:1]
	s_cbranch_vccz .LBB0_240
; %bb.232:                              ;   in Loop: Header=BB0_82 Depth=1
	s_sext_i32_i16 s0, s80
	s_cmpk_lt_i32 s0, 0x8c
	s_mov_b64 s[0:1], -1
	s_cbranch_scc1 .LBB0_238
; %bb.233:                              ;   in Loop: Header=BB0_82 Depth=1
	s_cmpk_lg_i32 s81, 0x8c
	s_cbranch_scc0 .LBB0_235
; %bb.234:                              ;   in Loop: Header=BB0_82 Depth=1
	s_add_u32 s8, s36, 0x1000
	s_addc_u32 s9, s37, 0
	s_getpc_b64 s[0:1]
	s_add_u32 s0, s0, _Z50ncclDevFunc_AllReduce_RING_SIMPLE_MinMax_f64_0_0_1v@rel32@lo+4
	s_addc_u32 s1, s1, _Z50ncclDevFunc_AllReduce_RING_SIMPLE_MinMax_f64_0_0_1v@rel32@hi+12
	s_mov_b64 s[4:5], s[48:49]
	s_mov_b64 s[6:7], s[38:39]
	;; [unrolled: 1-line block ×3, first 2 shown]
	s_mov_b32 s12, s55
	s_mov_b32 s13, s54
	;; [unrolled: 1-line block ×3, first 2 shown]
	v_mov_b32_e32 v31, v40
	s_swappc_b64 s[30:31], s[0:1]
	s_mov_b64 s[0:1], 0
.LBB0_235:                              ;   in Loop: Header=BB0_82 Depth=1
	s_andn2_b64 vcc, exec, s[0:1]
	s_cbranch_vccnz .LBB0_237
; %bb.236:                              ;   in Loop: Header=BB0_82 Depth=1
	s_add_u32 s8, s36, 0x1000
	s_addc_u32 s9, s37, 0
	s_getpc_b64 s[0:1]
	s_add_u32 s0, s0, _Z50ncclDevFunc_AllReduce_RING_SIMPLE_MinMax_f32_1_0_1v@rel32@lo+4
	s_addc_u32 s1, s1, _Z50ncclDevFunc_AllReduce_RING_SIMPLE_MinMax_f32_1_0_1v@rel32@hi+12
	s_mov_b64 s[4:5], s[48:49]
	s_mov_b64 s[6:7], s[38:39]
	;; [unrolled: 1-line block ×3, first 2 shown]
	s_mov_b32 s12, s55
	s_mov_b32 s13, s54
	;; [unrolled: 1-line block ×3, first 2 shown]
	v_mov_b32_e32 v31, v40
	s_swappc_b64 s[30:31], s[0:1]
.LBB0_237:                              ;   in Loop: Header=BB0_82 Depth=1
	s_mov_b64 s[0:1], 0
.LBB0_238:                              ;   in Loop: Header=BB0_82 Depth=1
	s_andn2_b64 vcc, exec, s[0:1]
	s_cbranch_vccnz .LBB0_240
; %bb.239:                              ;   in Loop: Header=BB0_82 Depth=1
	s_add_u32 s8, s36, 0x1000
	s_addc_u32 s9, s37, 0
	s_getpc_b64 s[0:1]
	s_add_u32 s0, s0, _Z50ncclDevFunc_AllReduce_RING_SIMPLE_MinMax_f32_0_0_1v@rel32@lo+4
	s_addc_u32 s1, s1, _Z50ncclDevFunc_AllReduce_RING_SIMPLE_MinMax_f32_0_0_1v@rel32@hi+12
	s_mov_b64 s[4:5], s[48:49]
	s_mov_b64 s[6:7], s[38:39]
	;; [unrolled: 1-line block ×3, first 2 shown]
	s_mov_b32 s12, s55
	s_mov_b32 s13, s54
	s_mov_b32 s14, s33
	v_mov_b32_e32 v31, v40
	s_swappc_b64 s[30:31], s[0:1]
.LBB0_240:                              ;   in Loop: Header=BB0_82 Depth=1
	s_mov_b64 s[0:1], 0
.LBB0_241:                              ;   in Loop: Header=BB0_82 Depth=1
	s_andn2_b64 vcc, exec, s[0:1]
	s_cbranch_vccnz .LBB0_257
; %bb.242:                              ;   in Loop: Header=BB0_82 Depth=1
	s_cmpk_gt_u32 s81, 0x87
	s_mov_b64 s[0:1], -1
	s_cbranch_scc0 .LBB0_252
; %bb.243:                              ;   in Loop: Header=BB0_82 Depth=1
	s_sext_i32_i16 s0, s80
	s_cmpk_lt_i32 s0, 0x89
	s_mov_b64 s[0:1], -1
	s_cbranch_scc1 .LBB0_249
; %bb.244:                              ;   in Loop: Header=BB0_82 Depth=1
	s_cmpk_lg_i32 s81, 0x89
	s_cbranch_scc0 .LBB0_246
; %bb.245:                              ;   in Loop: Header=BB0_82 Depth=1
	s_add_u32 s8, s36, 0x1000
	s_addc_u32 s9, s37, 0
	s_getpc_b64 s[0:1]
	s_add_u32 s0, s0, _Z50ncclDevFunc_AllReduce_RING_SIMPLE_MinMax_f16_1_0_1v@rel32@lo+4
	s_addc_u32 s1, s1, _Z50ncclDevFunc_AllReduce_RING_SIMPLE_MinMax_f16_1_0_1v@rel32@hi+12
	s_mov_b64 s[4:5], s[48:49]
	s_mov_b64 s[6:7], s[38:39]
	;; [unrolled: 1-line block ×3, first 2 shown]
	s_mov_b32 s12, s55
	s_mov_b32 s13, s54
	;; [unrolled: 1-line block ×3, first 2 shown]
	v_mov_b32_e32 v31, v40
	s_swappc_b64 s[30:31], s[0:1]
	s_mov_b64 s[0:1], 0
.LBB0_246:                              ;   in Loop: Header=BB0_82 Depth=1
	s_andn2_b64 vcc, exec, s[0:1]
	s_cbranch_vccnz .LBB0_248
; %bb.247:                              ;   in Loop: Header=BB0_82 Depth=1
	s_add_u32 s8, s36, 0x1000
	s_addc_u32 s9, s37, 0
	s_getpc_b64 s[0:1]
	s_add_u32 s0, s0, _Z50ncclDevFunc_AllReduce_RING_SIMPLE_MinMax_f16_0_0_1v@rel32@lo+4
	s_addc_u32 s1, s1, _Z50ncclDevFunc_AllReduce_RING_SIMPLE_MinMax_f16_0_0_1v@rel32@hi+12
	s_mov_b64 s[4:5], s[48:49]
	s_mov_b64 s[6:7], s[38:39]
	;; [unrolled: 1-line block ×3, first 2 shown]
	s_mov_b32 s12, s55
	s_mov_b32 s13, s54
	;; [unrolled: 1-line block ×3, first 2 shown]
	v_mov_b32_e32 v31, v40
	s_swappc_b64 s[30:31], s[0:1]
.LBB0_248:                              ;   in Loop: Header=BB0_82 Depth=1
	s_mov_b64 s[0:1], 0
.LBB0_249:                              ;   in Loop: Header=BB0_82 Depth=1
	s_andn2_b64 vcc, exec, s[0:1]
	s_cbranch_vccnz .LBB0_251
; %bb.250:                              ;   in Loop: Header=BB0_82 Depth=1
	s_add_u32 s8, s36, 0x1000
	s_addc_u32 s9, s37, 0
	s_getpc_b64 s[0:1]
	s_add_u32 s0, s0, _Z50ncclDevFunc_AllReduce_RING_SIMPLE_MinMax_u64_1_0_1v@rel32@lo+4
	s_addc_u32 s1, s1, _Z50ncclDevFunc_AllReduce_RING_SIMPLE_MinMax_u64_1_0_1v@rel32@hi+12
	s_mov_b64 s[4:5], s[48:49]
	s_mov_b64 s[6:7], s[38:39]
	;; [unrolled: 1-line block ×3, first 2 shown]
	s_mov_b32 s12, s55
	s_mov_b32 s13, s54
	;; [unrolled: 1-line block ×3, first 2 shown]
	v_mov_b32_e32 v31, v40
	s_swappc_b64 s[30:31], s[0:1]
.LBB0_251:                              ;   in Loop: Header=BB0_82 Depth=1
	s_mov_b64 s[0:1], 0
.LBB0_252:                              ;   in Loop: Header=BB0_82 Depth=1
	s_and_b64 vcc, exec, s[0:1]
	s_cbranch_vccz .LBB0_257
; %bb.253:                              ;   in Loop: Header=BB0_82 Depth=1
	s_cmpk_eq_i32 s81, 0x87
	s_mov_b64 s[0:1], -1
	s_cbranch_scc1 .LBB0_255
; %bb.254:                              ;   in Loop: Header=BB0_82 Depth=1
	s_add_u32 s8, s36, 0x1000
	s_addc_u32 s9, s37, 0
	s_getpc_b64 s[0:1]
	s_add_u32 s0, s0, _Z50ncclDevFunc_AllReduce_RING_SIMPLE_MinMax_u32_1_0_1v@rel32@lo+4
	s_addc_u32 s1, s1, _Z50ncclDevFunc_AllReduce_RING_SIMPLE_MinMax_u32_1_0_1v@rel32@hi+12
	s_mov_b64 s[4:5], s[48:49]
	s_mov_b64 s[6:7], s[38:39]
	;; [unrolled: 1-line block ×3, first 2 shown]
	s_mov_b32 s12, s55
	s_mov_b32 s13, s54
	;; [unrolled: 1-line block ×3, first 2 shown]
	v_mov_b32_e32 v31, v40
	s_swappc_b64 s[30:31], s[0:1]
	s_mov_b64 s[0:1], 0
.LBB0_255:                              ;   in Loop: Header=BB0_82 Depth=1
	s_andn2_b64 vcc, exec, s[0:1]
	s_cbranch_vccnz .LBB0_257
; %bb.256:                              ;   in Loop: Header=BB0_82 Depth=1
	s_add_u32 s8, s36, 0x1000
	s_addc_u32 s9, s37, 0
	s_getpc_b64 s[0:1]
	s_add_u32 s0, s0, _Z50ncclDevFunc_AllReduce_RING_SIMPLE_MinMax_u64_0_0_1v@rel32@lo+4
	s_addc_u32 s1, s1, _Z50ncclDevFunc_AllReduce_RING_SIMPLE_MinMax_u64_0_0_1v@rel32@hi+12
	s_mov_b64 s[4:5], s[48:49]
	s_mov_b64 s[6:7], s[38:39]
	;; [unrolled: 1-line block ×3, first 2 shown]
	s_mov_b32 s12, s55
	s_mov_b32 s13, s54
	;; [unrolled: 1-line block ×3, first 2 shown]
	v_mov_b32_e32 v31, v40
	s_swappc_b64 s[30:31], s[0:1]
.LBB0_257:                              ;   in Loop: Header=BB0_82 Depth=1
	s_mov_b64 s[0:1], 0
.LBB0_258:                              ;   in Loop: Header=BB0_82 Depth=1
	s_andn2_b64 vcc, exec, s[0:1]
	s_cbranch_vccnz .LBB0_420
; %bb.259:                              ;   in Loop: Header=BB0_82 Depth=1
	s_cmpk_gt_u32 s81, 0x6e
	s_mov_b64 s[0:1], -1
	s_cbranch_scc0 .LBB0_342
; %bb.260:                              ;   in Loop: Header=BB0_82 Depth=1
	s_cmpk_gt_u32 s81, 0x79
	s_cbranch_scc0 .LBB0_303
; %bb.261:                              ;   in Loop: Header=BB0_82 Depth=1
	s_cmpk_gt_u32 s81, 0x7f
	;; [unrolled: 3-line block ×3, first 2 shown]
	s_cbranch_scc0 .LBB0_272
; %bb.263:                              ;   in Loop: Header=BB0_82 Depth=1
	s_sext_i32_i16 s0, s80
	s_cmpk_lt_i32 s0, 0x84
	s_mov_b64 s[0:1], -1
	s_cbranch_scc1 .LBB0_269
; %bb.264:                              ;   in Loop: Header=BB0_82 Depth=1
	s_cmpk_lg_i32 s81, 0x84
	s_cbranch_scc0 .LBB0_266
; %bb.265:                              ;   in Loop: Header=BB0_82 Depth=1
	s_add_u32 s8, s36, 0x1000
	s_addc_u32 s9, s37, 0
	s_getpc_b64 s[0:1]
	s_add_u32 s0, s0, _Z50ncclDevFunc_AllReduce_RING_SIMPLE_MinMax_u32_0_0_1v@rel32@lo+4
	s_addc_u32 s1, s1, _Z50ncclDevFunc_AllReduce_RING_SIMPLE_MinMax_u32_0_0_1v@rel32@hi+12
	s_mov_b64 s[4:5], s[48:49]
	s_mov_b64 s[6:7], s[38:39]
	;; [unrolled: 1-line block ×3, first 2 shown]
	s_mov_b32 s12, s55
	s_mov_b32 s13, s54
	;; [unrolled: 1-line block ×3, first 2 shown]
	v_mov_b32_e32 v31, v40
	s_swappc_b64 s[30:31], s[0:1]
	s_mov_b64 s[0:1], 0
.LBB0_266:                              ;   in Loop: Header=BB0_82 Depth=1
	s_andn2_b64 vcc, exec, s[0:1]
	s_cbranch_vccnz .LBB0_268
; %bb.267:                              ;   in Loop: Header=BB0_82 Depth=1
	s_add_u32 s8, s36, 0x1000
	s_addc_u32 s9, s37, 0
	s_getpc_b64 s[0:1]
	s_add_u32 s0, s0, _Z49ncclDevFunc_AllReduce_RING_SIMPLE_MinMax_u8_1_0_1v@rel32@lo+4
	s_addc_u32 s1, s1, _Z49ncclDevFunc_AllReduce_RING_SIMPLE_MinMax_u8_1_0_1v@rel32@hi+12
	s_mov_b64 s[4:5], s[48:49]
	s_mov_b64 s[6:7], s[38:39]
	;; [unrolled: 1-line block ×3, first 2 shown]
	s_mov_b32 s12, s55
	s_mov_b32 s13, s54
	;; [unrolled: 1-line block ×3, first 2 shown]
	v_mov_b32_e32 v31, v40
	s_swappc_b64 s[30:31], s[0:1]
.LBB0_268:                              ;   in Loop: Header=BB0_82 Depth=1
	s_mov_b64 s[0:1], 0
.LBB0_269:                              ;   in Loop: Header=BB0_82 Depth=1
	s_andn2_b64 vcc, exec, s[0:1]
	s_cbranch_vccnz .LBB0_271
; %bb.270:                              ;   in Loop: Header=BB0_82 Depth=1
	s_add_u32 s8, s36, 0x1000
	s_addc_u32 s9, s37, 0
	s_getpc_b64 s[0:1]
	s_add_u32 s0, s0, _Z49ncclDevFunc_AllReduce_RING_SIMPLE_MinMax_u8_0_0_1v@rel32@lo+4
	s_addc_u32 s1, s1, _Z49ncclDevFunc_AllReduce_RING_SIMPLE_MinMax_u8_0_0_1v@rel32@hi+12
	s_mov_b64 s[4:5], s[48:49]
	s_mov_b64 s[6:7], s[38:39]
	;; [unrolled: 1-line block ×3, first 2 shown]
	s_mov_b32 s12, s55
	s_mov_b32 s13, s54
	;; [unrolled: 1-line block ×3, first 2 shown]
	v_mov_b32_e32 v31, v40
	s_swappc_b64 s[30:31], s[0:1]
.LBB0_271:                              ;   in Loop: Header=BB0_82 Depth=1
	s_mov_b64 s[0:1], 0
.LBB0_272:                              ;   in Loop: Header=BB0_82 Depth=1
	s_and_b64 vcc, exec, s[0:1]
	s_cbranch_vccz .LBB0_281
; %bb.273:                              ;   in Loop: Header=BB0_82 Depth=1
	s_sext_i32_i16 s0, s80
	s_cmpk_lt_i32 s0, 0x81
	s_mov_b64 s[0:1], -1
	s_cbranch_scc1 .LBB0_279
; %bb.274:                              ;   in Loop: Header=BB0_82 Depth=1
	s_cmpk_lg_i32 s81, 0x81
	s_cbranch_scc0 .LBB0_276
; %bb.275:                              ;   in Loop: Header=BB0_82 Depth=1
	s_add_u32 s8, s36, 0x1000
	s_addc_u32 s9, s37, 0
	s_getpc_b64 s[0:1]
	s_add_u32 s0, s0, _Z51ncclDevFunc_AllReduce_RING_SIMPLE_Prod_f8e5m2_1_0_1v@rel32@lo+4
	s_addc_u32 s1, s1, _Z51ncclDevFunc_AllReduce_RING_SIMPLE_Prod_f8e5m2_1_0_1v@rel32@hi+12
	s_mov_b64 s[4:5], s[48:49]
	s_mov_b64 s[6:7], s[38:39]
	;; [unrolled: 1-line block ×3, first 2 shown]
	s_mov_b32 s12, s55
	s_mov_b32 s13, s54
	;; [unrolled: 1-line block ×3, first 2 shown]
	v_mov_b32_e32 v31, v40
	s_swappc_b64 s[30:31], s[0:1]
	s_mov_b64 s[0:1], 0
.LBB0_276:                              ;   in Loop: Header=BB0_82 Depth=1
	s_andn2_b64 vcc, exec, s[0:1]
	s_cbranch_vccnz .LBB0_278
; %bb.277:                              ;   in Loop: Header=BB0_82 Depth=1
	s_add_u32 s8, s36, 0x1000
	s_addc_u32 s9, s37, 0
	s_getpc_b64 s[0:1]
	s_add_u32 s0, s0, _Z51ncclDevFunc_AllReduce_RING_SIMPLE_Prod_f8e5m2_0_0_1v@rel32@lo+4
	s_addc_u32 s1, s1, _Z51ncclDevFunc_AllReduce_RING_SIMPLE_Prod_f8e5m2_0_0_1v@rel32@hi+12
	s_mov_b64 s[4:5], s[48:49]
	s_mov_b64 s[6:7], s[38:39]
	;; [unrolled: 1-line block ×3, first 2 shown]
	s_mov_b32 s12, s55
	s_mov_b32 s13, s54
	;; [unrolled: 1-line block ×3, first 2 shown]
	v_mov_b32_e32 v31, v40
	s_swappc_b64 s[30:31], s[0:1]
.LBB0_278:                              ;   in Loop: Header=BB0_82 Depth=1
	s_mov_b64 s[0:1], 0
.LBB0_279:                              ;   in Loop: Header=BB0_82 Depth=1
	s_andn2_b64 vcc, exec, s[0:1]
	s_cbranch_vccnz .LBB0_281
; %bb.280:                              ;   in Loop: Header=BB0_82 Depth=1
	s_add_u32 s8, s36, 0x1000
	s_addc_u32 s9, s37, 0
	s_getpc_b64 s[0:1]
	s_add_u32 s0, s0, _Z51ncclDevFunc_AllReduce_RING_SIMPLE_Prod_f8e4m3_1_0_1v@rel32@lo+4
	s_addc_u32 s1, s1, _Z51ncclDevFunc_AllReduce_RING_SIMPLE_Prod_f8e4m3_1_0_1v@rel32@hi+12
	s_mov_b64 s[4:5], s[48:49]
	s_mov_b64 s[6:7], s[38:39]
	;; [unrolled: 1-line block ×3, first 2 shown]
	s_mov_b32 s12, s55
	s_mov_b32 s13, s54
	;; [unrolled: 1-line block ×3, first 2 shown]
	v_mov_b32_e32 v31, v40
	s_swappc_b64 s[30:31], s[0:1]
.LBB0_281:                              ;   in Loop: Header=BB0_82 Depth=1
	s_mov_b64 s[0:1], 0
.LBB0_282:                              ;   in Loop: Header=BB0_82 Depth=1
	s_andn2_b64 vcc, exec, s[0:1]
	s_cbranch_vccnz .LBB0_302
; %bb.283:                              ;   in Loop: Header=BB0_82 Depth=1
	s_cmpk_gt_u32 s81, 0x7c
	s_mov_b64 s[0:1], -1
	s_cbranch_scc0 .LBB0_293
; %bb.284:                              ;   in Loop: Header=BB0_82 Depth=1
	s_sext_i32_i16 s0, s80
	s_cmpk_lt_i32 s0, 0x7e
	s_mov_b64 s[0:1], -1
	s_cbranch_scc1 .LBB0_290
; %bb.285:                              ;   in Loop: Header=BB0_82 Depth=1
	s_cmpk_lg_i32 s81, 0x7e
	s_cbranch_scc0 .LBB0_287
; %bb.286:                              ;   in Loop: Header=BB0_82 Depth=1
	s_add_u32 s8, s36, 0x1000
	s_addc_u32 s9, s37, 0
	s_getpc_b64 s[0:1]
	s_add_u32 s0, s0, _Z51ncclDevFunc_AllReduce_RING_SIMPLE_Prod_f8e4m3_0_0_1v@rel32@lo+4
	s_addc_u32 s1, s1, _Z51ncclDevFunc_AllReduce_RING_SIMPLE_Prod_f8e4m3_0_0_1v@rel32@hi+12
	s_mov_b64 s[4:5], s[48:49]
	s_mov_b64 s[6:7], s[38:39]
	s_mov_b64 s[10:11], s[34:35]
	s_mov_b32 s12, s55
	s_mov_b32 s13, s54
	;; [unrolled: 1-line block ×3, first 2 shown]
	v_mov_b32_e32 v31, v40
	s_swappc_b64 s[30:31], s[0:1]
	s_mov_b64 s[0:1], 0
.LBB0_287:                              ;   in Loop: Header=BB0_82 Depth=1
	s_andn2_b64 vcc, exec, s[0:1]
	s_cbranch_vccnz .LBB0_289
; %bb.288:                              ;   in Loop: Header=BB0_82 Depth=1
	s_add_u32 s8, s36, 0x1000
	s_addc_u32 s9, s37, 0
	s_getpc_b64 s[0:1]
	s_add_u32 s0, s0, _Z49ncclDevFunc_AllReduce_RING_SIMPLE_Prod_bf16_1_1_1v@rel32@lo+4
	s_addc_u32 s1, s1, _Z49ncclDevFunc_AllReduce_RING_SIMPLE_Prod_bf16_1_1_1v@rel32@hi+12
	s_mov_b64 s[4:5], s[48:49]
	s_mov_b64 s[6:7], s[38:39]
	;; [unrolled: 1-line block ×3, first 2 shown]
	s_mov_b32 s12, s55
	s_mov_b32 s13, s54
	;; [unrolled: 1-line block ×3, first 2 shown]
	v_mov_b32_e32 v31, v40
	s_swappc_b64 s[30:31], s[0:1]
.LBB0_289:                              ;   in Loop: Header=BB0_82 Depth=1
	s_mov_b64 s[0:1], 0
.LBB0_290:                              ;   in Loop: Header=BB0_82 Depth=1
	s_andn2_b64 vcc, exec, s[0:1]
	s_cbranch_vccnz .LBB0_292
; %bb.291:                              ;   in Loop: Header=BB0_82 Depth=1
	s_add_u32 s8, s36, 0x1000
	s_addc_u32 s9, s37, 0
	s_getpc_b64 s[0:1]
	s_add_u32 s0, s0, _Z49ncclDevFunc_AllReduce_RING_SIMPLE_Prod_bf16_1_0_1v@rel32@lo+4
	s_addc_u32 s1, s1, _Z49ncclDevFunc_AllReduce_RING_SIMPLE_Prod_bf16_1_0_1v@rel32@hi+12
	s_mov_b64 s[4:5], s[48:49]
	s_mov_b64 s[6:7], s[38:39]
	;; [unrolled: 1-line block ×3, first 2 shown]
	s_mov_b32 s12, s55
	s_mov_b32 s13, s54
	;; [unrolled: 1-line block ×3, first 2 shown]
	v_mov_b32_e32 v31, v40
	s_swappc_b64 s[30:31], s[0:1]
.LBB0_292:                              ;   in Loop: Header=BB0_82 Depth=1
	s_mov_b64 s[0:1], 0
.LBB0_293:                              ;   in Loop: Header=BB0_82 Depth=1
	s_and_b64 vcc, exec, s[0:1]
	s_cbranch_vccz .LBB0_302
; %bb.294:                              ;   in Loop: Header=BB0_82 Depth=1
	s_sext_i32_i16 s0, s80
	s_cmpk_lt_i32 s0, 0x7b
	s_mov_b64 s[0:1], -1
	s_cbranch_scc1 .LBB0_300
; %bb.295:                              ;   in Loop: Header=BB0_82 Depth=1
	s_cmpk_lg_i32 s81, 0x7b
	s_cbranch_scc0 .LBB0_297
; %bb.296:                              ;   in Loop: Header=BB0_82 Depth=1
	s_add_u32 s8, s36, 0x1000
	s_addc_u32 s9, s37, 0
	s_getpc_b64 s[0:1]
	s_add_u32 s0, s0, _Z49ncclDevFunc_AllReduce_RING_SIMPLE_Prod_bf16_0_1_1v@rel32@lo+4
	s_addc_u32 s1, s1, _Z49ncclDevFunc_AllReduce_RING_SIMPLE_Prod_bf16_0_1_1v@rel32@hi+12
	s_mov_b64 s[4:5], s[48:49]
	s_mov_b64 s[6:7], s[38:39]
	;; [unrolled: 1-line block ×3, first 2 shown]
	s_mov_b32 s12, s55
	s_mov_b32 s13, s54
	;; [unrolled: 1-line block ×3, first 2 shown]
	v_mov_b32_e32 v31, v40
	s_swappc_b64 s[30:31], s[0:1]
	s_mov_b64 s[0:1], 0
.LBB0_297:                              ;   in Loop: Header=BB0_82 Depth=1
	s_andn2_b64 vcc, exec, s[0:1]
	s_cbranch_vccnz .LBB0_299
; %bb.298:                              ;   in Loop: Header=BB0_82 Depth=1
	s_add_u32 s8, s36, 0x1000
	s_addc_u32 s9, s37, 0
	s_getpc_b64 s[0:1]
	s_add_u32 s0, s0, _Z49ncclDevFunc_AllReduce_RING_SIMPLE_Prod_bf16_0_0_1v@rel32@lo+4
	s_addc_u32 s1, s1, _Z49ncclDevFunc_AllReduce_RING_SIMPLE_Prod_bf16_0_0_1v@rel32@hi+12
	s_mov_b64 s[4:5], s[48:49]
	s_mov_b64 s[6:7], s[38:39]
	;; [unrolled: 1-line block ×3, first 2 shown]
	s_mov_b32 s12, s55
	s_mov_b32 s13, s54
	;; [unrolled: 1-line block ×3, first 2 shown]
	v_mov_b32_e32 v31, v40
	s_swappc_b64 s[30:31], s[0:1]
.LBB0_299:                              ;   in Loop: Header=BB0_82 Depth=1
	s_mov_b64 s[0:1], 0
.LBB0_300:                              ;   in Loop: Header=BB0_82 Depth=1
	s_andn2_b64 vcc, exec, s[0:1]
	s_cbranch_vccnz .LBB0_302
; %bb.301:                              ;   in Loop: Header=BB0_82 Depth=1
	s_add_u32 s8, s36, 0x1000
	s_addc_u32 s9, s37, 0
	s_getpc_b64 s[0:1]
	s_add_u32 s0, s0, _Z48ncclDevFunc_AllReduce_RING_SIMPLE_Prod_f64_1_0_1v@rel32@lo+4
	s_addc_u32 s1, s1, _Z48ncclDevFunc_AllReduce_RING_SIMPLE_Prod_f64_1_0_1v@rel32@hi+12
	s_mov_b64 s[4:5], s[48:49]
	s_mov_b64 s[6:7], s[38:39]
	;; [unrolled: 1-line block ×3, first 2 shown]
	s_mov_b32 s12, s55
	s_mov_b32 s13, s54
	;; [unrolled: 1-line block ×3, first 2 shown]
	v_mov_b32_e32 v31, v40
	s_swappc_b64 s[30:31], s[0:1]
.LBB0_302:                              ;   in Loop: Header=BB0_82 Depth=1
	s_mov_b64 s[0:1], 0
.LBB0_303:                              ;   in Loop: Header=BB0_82 Depth=1
	s_andn2_b64 vcc, exec, s[0:1]
	s_cbranch_vccnz .LBB0_341
; %bb.304:                              ;   in Loop: Header=BB0_82 Depth=1
	s_cmpk_gt_u32 s81, 0x73
	s_mov_b64 s[0:1], -1
	s_cbranch_scc0 .LBB0_325
; %bb.305:                              ;   in Loop: Header=BB0_82 Depth=1
	s_cmpk_gt_u32 s81, 0x76
	s_cbranch_scc0 .LBB0_315
; %bb.306:                              ;   in Loop: Header=BB0_82 Depth=1
	s_sext_i32_i16 s0, s80
	s_cmpk_lt_i32 s0, 0x78
	s_mov_b64 s[0:1], -1
	s_cbranch_scc1 .LBB0_312
; %bb.307:                              ;   in Loop: Header=BB0_82 Depth=1
	s_cmpk_lg_i32 s81, 0x78
	s_cbranch_scc0 .LBB0_309
; %bb.308:                              ;   in Loop: Header=BB0_82 Depth=1
	s_add_u32 s8, s36, 0x1000
	s_addc_u32 s9, s37, 0
	s_getpc_b64 s[0:1]
	s_add_u32 s0, s0, _Z48ncclDevFunc_AllReduce_RING_SIMPLE_Prod_f64_0_0_1v@rel32@lo+4
	s_addc_u32 s1, s1, _Z48ncclDevFunc_AllReduce_RING_SIMPLE_Prod_f64_0_0_1v@rel32@hi+12
	s_mov_b64 s[4:5], s[48:49]
	s_mov_b64 s[6:7], s[38:39]
	;; [unrolled: 1-line block ×3, first 2 shown]
	s_mov_b32 s12, s55
	s_mov_b32 s13, s54
	;; [unrolled: 1-line block ×3, first 2 shown]
	v_mov_b32_e32 v31, v40
	s_swappc_b64 s[30:31], s[0:1]
	s_mov_b64 s[0:1], 0
.LBB0_309:                              ;   in Loop: Header=BB0_82 Depth=1
	s_andn2_b64 vcc, exec, s[0:1]
	s_cbranch_vccnz .LBB0_311
; %bb.310:                              ;   in Loop: Header=BB0_82 Depth=1
	s_add_u32 s8, s36, 0x1000
	s_addc_u32 s9, s37, 0
	s_getpc_b64 s[0:1]
	s_add_u32 s0, s0, _Z48ncclDevFunc_AllReduce_RING_SIMPLE_Prod_f32_1_0_1v@rel32@lo+4
	s_addc_u32 s1, s1, _Z48ncclDevFunc_AllReduce_RING_SIMPLE_Prod_f32_1_0_1v@rel32@hi+12
	s_mov_b64 s[4:5], s[48:49]
	s_mov_b64 s[6:7], s[38:39]
	;; [unrolled: 1-line block ×3, first 2 shown]
	s_mov_b32 s12, s55
	s_mov_b32 s13, s54
	;; [unrolled: 1-line block ×3, first 2 shown]
	v_mov_b32_e32 v31, v40
	s_swappc_b64 s[30:31], s[0:1]
.LBB0_311:                              ;   in Loop: Header=BB0_82 Depth=1
	s_mov_b64 s[0:1], 0
.LBB0_312:                              ;   in Loop: Header=BB0_82 Depth=1
	s_andn2_b64 vcc, exec, s[0:1]
	s_cbranch_vccnz .LBB0_314
; %bb.313:                              ;   in Loop: Header=BB0_82 Depth=1
	s_add_u32 s8, s36, 0x1000
	s_addc_u32 s9, s37, 0
	s_getpc_b64 s[0:1]
	s_add_u32 s0, s0, _Z48ncclDevFunc_AllReduce_RING_SIMPLE_Prod_f32_0_0_1v@rel32@lo+4
	s_addc_u32 s1, s1, _Z48ncclDevFunc_AllReduce_RING_SIMPLE_Prod_f32_0_0_1v@rel32@hi+12
	s_mov_b64 s[4:5], s[48:49]
	s_mov_b64 s[6:7], s[38:39]
	;; [unrolled: 1-line block ×3, first 2 shown]
	s_mov_b32 s12, s55
	s_mov_b32 s13, s54
	;; [unrolled: 1-line block ×3, first 2 shown]
	v_mov_b32_e32 v31, v40
	s_swappc_b64 s[30:31], s[0:1]
.LBB0_314:                              ;   in Loop: Header=BB0_82 Depth=1
	s_mov_b64 s[0:1], 0
.LBB0_315:                              ;   in Loop: Header=BB0_82 Depth=1
	s_and_b64 vcc, exec, s[0:1]
	s_cbranch_vccz .LBB0_324
; %bb.316:                              ;   in Loop: Header=BB0_82 Depth=1
	s_sext_i32_i16 s0, s80
	s_cmpk_lt_i32 s0, 0x75
	s_mov_b64 s[0:1], -1
	s_cbranch_scc1 .LBB0_322
; %bb.317:                              ;   in Loop: Header=BB0_82 Depth=1
	s_cmpk_lg_i32 s81, 0x75
	s_cbranch_scc0 .LBB0_319
; %bb.318:                              ;   in Loop: Header=BB0_82 Depth=1
	s_add_u32 s8, s36, 0x1000
	s_addc_u32 s9, s37, 0
	s_getpc_b64 s[0:1]
	s_add_u32 s0, s0, _Z48ncclDevFunc_AllReduce_RING_SIMPLE_Prod_f16_1_0_1v@rel32@lo+4
	s_addc_u32 s1, s1, _Z48ncclDevFunc_AllReduce_RING_SIMPLE_Prod_f16_1_0_1v@rel32@hi+12
	s_mov_b64 s[4:5], s[48:49]
	s_mov_b64 s[6:7], s[38:39]
	;; [unrolled: 1-line block ×3, first 2 shown]
	s_mov_b32 s12, s55
	s_mov_b32 s13, s54
	;; [unrolled: 1-line block ×3, first 2 shown]
	v_mov_b32_e32 v31, v40
	s_swappc_b64 s[30:31], s[0:1]
	s_mov_b64 s[0:1], 0
.LBB0_319:                              ;   in Loop: Header=BB0_82 Depth=1
	s_andn2_b64 vcc, exec, s[0:1]
	s_cbranch_vccnz .LBB0_321
; %bb.320:                              ;   in Loop: Header=BB0_82 Depth=1
	s_add_u32 s8, s36, 0x1000
	s_addc_u32 s9, s37, 0
	s_getpc_b64 s[0:1]
	s_add_u32 s0, s0, _Z48ncclDevFunc_AllReduce_RING_SIMPLE_Prod_f16_0_0_1v@rel32@lo+4
	s_addc_u32 s1, s1, _Z48ncclDevFunc_AllReduce_RING_SIMPLE_Prod_f16_0_0_1v@rel32@hi+12
	s_mov_b64 s[4:5], s[48:49]
	s_mov_b64 s[6:7], s[38:39]
	;; [unrolled: 1-line block ×3, first 2 shown]
	s_mov_b32 s12, s55
	s_mov_b32 s13, s54
	;; [unrolled: 1-line block ×3, first 2 shown]
	v_mov_b32_e32 v31, v40
	s_swappc_b64 s[30:31], s[0:1]
.LBB0_321:                              ;   in Loop: Header=BB0_82 Depth=1
	s_mov_b64 s[0:1], 0
.LBB0_322:                              ;   in Loop: Header=BB0_82 Depth=1
	s_andn2_b64 vcc, exec, s[0:1]
	s_cbranch_vccnz .LBB0_324
; %bb.323:                              ;   in Loop: Header=BB0_82 Depth=1
	s_add_u32 s8, s36, 0x1000
	s_addc_u32 s9, s37, 0
	s_getpc_b64 s[0:1]
	s_add_u32 s0, s0, _Z48ncclDevFunc_AllReduce_RING_SIMPLE_Prod_u64_1_0_1v@rel32@lo+4
	s_addc_u32 s1, s1, _Z48ncclDevFunc_AllReduce_RING_SIMPLE_Prod_u64_1_0_1v@rel32@hi+12
	s_mov_b64 s[4:5], s[48:49]
	s_mov_b64 s[6:7], s[38:39]
	;; [unrolled: 1-line block ×3, first 2 shown]
	s_mov_b32 s12, s55
	s_mov_b32 s13, s54
	;; [unrolled: 1-line block ×3, first 2 shown]
	v_mov_b32_e32 v31, v40
	s_swappc_b64 s[30:31], s[0:1]
.LBB0_324:                              ;   in Loop: Header=BB0_82 Depth=1
	s_mov_b64 s[0:1], 0
.LBB0_325:                              ;   in Loop: Header=BB0_82 Depth=1
	s_andn2_b64 vcc, exec, s[0:1]
	s_cbranch_vccnz .LBB0_341
; %bb.326:                              ;   in Loop: Header=BB0_82 Depth=1
	s_cmpk_gt_u32 s81, 0x70
	s_mov_b64 s[0:1], -1
	s_cbranch_scc0 .LBB0_336
; %bb.327:                              ;   in Loop: Header=BB0_82 Depth=1
	s_sext_i32_i16 s0, s80
	s_cmpk_lt_i32 s0, 0x72
	s_mov_b64 s[0:1], -1
	s_cbranch_scc1 .LBB0_333
; %bb.328:                              ;   in Loop: Header=BB0_82 Depth=1
	s_cmpk_lg_i32 s81, 0x72
	s_cbranch_scc0 .LBB0_330
; %bb.329:                              ;   in Loop: Header=BB0_82 Depth=1
	s_add_u32 s8, s36, 0x1000
	s_addc_u32 s9, s37, 0
	s_getpc_b64 s[0:1]
	s_add_u32 s0, s0, _Z48ncclDevFunc_AllReduce_RING_SIMPLE_Prod_u64_0_0_1v@rel32@lo+4
	s_addc_u32 s1, s1, _Z48ncclDevFunc_AllReduce_RING_SIMPLE_Prod_u64_0_0_1v@rel32@hi+12
	s_mov_b64 s[4:5], s[48:49]
	s_mov_b64 s[6:7], s[38:39]
	;; [unrolled: 1-line block ×3, first 2 shown]
	s_mov_b32 s12, s55
	s_mov_b32 s13, s54
	;; [unrolled: 1-line block ×3, first 2 shown]
	v_mov_b32_e32 v31, v40
	s_swappc_b64 s[30:31], s[0:1]
	s_mov_b64 s[0:1], 0
.LBB0_330:                              ;   in Loop: Header=BB0_82 Depth=1
	s_andn2_b64 vcc, exec, s[0:1]
	s_cbranch_vccnz .LBB0_332
; %bb.331:                              ;   in Loop: Header=BB0_82 Depth=1
	s_add_u32 s8, s36, 0x1000
	s_addc_u32 s9, s37, 0
	s_getpc_b64 s[0:1]
	s_add_u32 s0, s0, _Z48ncclDevFunc_AllReduce_RING_SIMPLE_Prod_u32_1_0_1v@rel32@lo+4
	s_addc_u32 s1, s1, _Z48ncclDevFunc_AllReduce_RING_SIMPLE_Prod_u32_1_0_1v@rel32@hi+12
	s_mov_b64 s[4:5], s[48:49]
	s_mov_b64 s[6:7], s[38:39]
	;; [unrolled: 1-line block ×3, first 2 shown]
	s_mov_b32 s12, s55
	s_mov_b32 s13, s54
	;; [unrolled: 1-line block ×3, first 2 shown]
	v_mov_b32_e32 v31, v40
	s_swappc_b64 s[30:31], s[0:1]
.LBB0_332:                              ;   in Loop: Header=BB0_82 Depth=1
	s_mov_b64 s[0:1], 0
.LBB0_333:                              ;   in Loop: Header=BB0_82 Depth=1
	s_andn2_b64 vcc, exec, s[0:1]
	s_cbranch_vccnz .LBB0_335
; %bb.334:                              ;   in Loop: Header=BB0_82 Depth=1
	s_add_u32 s8, s36, 0x1000
	s_addc_u32 s9, s37, 0
	s_getpc_b64 s[0:1]
	s_add_u32 s0, s0, _Z48ncclDevFunc_AllReduce_RING_SIMPLE_Prod_u32_0_0_1v@rel32@lo+4
	s_addc_u32 s1, s1, _Z48ncclDevFunc_AllReduce_RING_SIMPLE_Prod_u32_0_0_1v@rel32@hi+12
	s_mov_b64 s[4:5], s[48:49]
	s_mov_b64 s[6:7], s[38:39]
	;; [unrolled: 1-line block ×3, first 2 shown]
	s_mov_b32 s12, s55
	s_mov_b32 s13, s54
	;; [unrolled: 1-line block ×3, first 2 shown]
	v_mov_b32_e32 v31, v40
	s_swappc_b64 s[30:31], s[0:1]
.LBB0_335:                              ;   in Loop: Header=BB0_82 Depth=1
	s_mov_b64 s[0:1], 0
.LBB0_336:                              ;   in Loop: Header=BB0_82 Depth=1
	s_and_b64 vcc, exec, s[0:1]
	s_cbranch_vccz .LBB0_341
; %bb.337:                              ;   in Loop: Header=BB0_82 Depth=1
	s_cmpk_eq_i32 s81, 0x70
	s_mov_b64 s[0:1], -1
	s_cbranch_scc1 .LBB0_339
; %bb.338:                              ;   in Loop: Header=BB0_82 Depth=1
	s_add_u32 s8, s36, 0x1000
	s_addc_u32 s9, s37, 0
	s_getpc_b64 s[0:1]
	s_add_u32 s0, s0, _Z47ncclDevFunc_AllReduce_RING_SIMPLE_Prod_u8_0_0_1v@rel32@lo+4
	s_addc_u32 s1, s1, _Z47ncclDevFunc_AllReduce_RING_SIMPLE_Prod_u8_0_0_1v@rel32@hi+12
	s_mov_b64 s[4:5], s[48:49]
	s_mov_b64 s[6:7], s[38:39]
	;; [unrolled: 1-line block ×3, first 2 shown]
	s_mov_b32 s12, s55
	s_mov_b32 s13, s54
	;; [unrolled: 1-line block ×3, first 2 shown]
	v_mov_b32_e32 v31, v40
	s_swappc_b64 s[30:31], s[0:1]
	s_mov_b64 s[0:1], 0
.LBB0_339:                              ;   in Loop: Header=BB0_82 Depth=1
	s_andn2_b64 vcc, exec, s[0:1]
	s_cbranch_vccnz .LBB0_341
; %bb.340:                              ;   in Loop: Header=BB0_82 Depth=1
	s_add_u32 s8, s36, 0x1000
	s_addc_u32 s9, s37, 0
	s_getpc_b64 s[0:1]
	s_add_u32 s0, s0, _Z47ncclDevFunc_AllReduce_RING_SIMPLE_Prod_u8_1_0_1v@rel32@lo+4
	s_addc_u32 s1, s1, _Z47ncclDevFunc_AllReduce_RING_SIMPLE_Prod_u8_1_0_1v@rel32@hi+12
	s_mov_b64 s[4:5], s[48:49]
	s_mov_b64 s[6:7], s[38:39]
	;; [unrolled: 1-line block ×3, first 2 shown]
	s_mov_b32 s12, s55
	s_mov_b32 s13, s54
	;; [unrolled: 1-line block ×3, first 2 shown]
	v_mov_b32_e32 v31, v40
	s_swappc_b64 s[30:31], s[0:1]
.LBB0_341:                              ;   in Loop: Header=BB0_82 Depth=1
	s_mov_b64 s[0:1], 0
.LBB0_342:                              ;   in Loop: Header=BB0_82 Depth=1
	s_andn2_b64 vcc, exec, s[0:1]
	s_cbranch_vccnz .LBB0_420
; %bb.343:                              ;   in Loop: Header=BB0_82 Depth=1
	s_cmpk_gt_u32 s81, 0x63
	s_mov_b64 s[0:1], -1
	s_cbranch_scc0 .LBB0_382
; %bb.344:                              ;   in Loop: Header=BB0_82 Depth=1
	s_cmpk_gt_u32 s81, 0x68
	s_cbranch_scc0 .LBB0_365
; %bb.345:                              ;   in Loop: Header=BB0_82 Depth=1
	s_cmpk_gt_u32 s81, 0x6b
	s_cbranch_scc0 .LBB0_355
; %bb.346:                              ;   in Loop: Header=BB0_82 Depth=1
	s_sext_i32_i16 s0, s80
	s_cmpk_lt_i32 s0, 0x6d
	s_mov_b64 s[0:1], -1
	s_cbranch_scc1 .LBB0_352
; %bb.347:                              ;   in Loop: Header=BB0_82 Depth=1
	s_cmpk_lg_i32 s81, 0x6d
	s_cbranch_scc0 .LBB0_349
; %bb.348:                              ;   in Loop: Header=BB0_82 Depth=1
	s_add_u32 s8, s36, 0x1000
	s_addc_u32 s9, s37, 0
	s_getpc_b64 s[0:1]
	s_add_u32 s0, s0, _Z50ncclDevFunc_AllReduce_RING_SIMPLE_Sum_f8e5m2_1_0_1v@rel32@lo+4
	s_addc_u32 s1, s1, _Z50ncclDevFunc_AllReduce_RING_SIMPLE_Sum_f8e5m2_1_0_1v@rel32@hi+12
	s_mov_b64 s[4:5], s[48:49]
	s_mov_b64 s[6:7], s[38:39]
	;; [unrolled: 1-line block ×3, first 2 shown]
	s_mov_b32 s12, s55
	s_mov_b32 s13, s54
	s_mov_b32 s14, s33
	v_mov_b32_e32 v31, v40
	s_swappc_b64 s[30:31], s[0:1]
	s_mov_b64 s[0:1], 0
.LBB0_349:                              ;   in Loop: Header=BB0_82 Depth=1
	s_andn2_b64 vcc, exec, s[0:1]
	s_cbranch_vccnz .LBB0_351
; %bb.350:                              ;   in Loop: Header=BB0_82 Depth=1
	s_add_u32 s8, s36, 0x1000
	s_addc_u32 s9, s37, 0
	s_getpc_b64 s[0:1]
	s_add_u32 s0, s0, _Z50ncclDevFunc_AllReduce_RING_SIMPLE_Sum_f8e5m2_0_0_1v@rel32@lo+4
	s_addc_u32 s1, s1, _Z50ncclDevFunc_AllReduce_RING_SIMPLE_Sum_f8e5m2_0_0_1v@rel32@hi+12
	s_mov_b64 s[4:5], s[48:49]
	s_mov_b64 s[6:7], s[38:39]
	;; [unrolled: 1-line block ×3, first 2 shown]
	s_mov_b32 s12, s55
	s_mov_b32 s13, s54
	;; [unrolled: 1-line block ×3, first 2 shown]
	v_mov_b32_e32 v31, v40
	s_swappc_b64 s[30:31], s[0:1]
.LBB0_351:                              ;   in Loop: Header=BB0_82 Depth=1
	s_mov_b64 s[0:1], 0
.LBB0_352:                              ;   in Loop: Header=BB0_82 Depth=1
	s_andn2_b64 vcc, exec, s[0:1]
	s_cbranch_vccnz .LBB0_354
; %bb.353:                              ;   in Loop: Header=BB0_82 Depth=1
	s_add_u32 s8, s36, 0x1000
	s_addc_u32 s9, s37, 0
	s_getpc_b64 s[0:1]
	s_add_u32 s0, s0, _Z50ncclDevFunc_AllReduce_RING_SIMPLE_Sum_f8e4m3_1_0_1v@rel32@lo+4
	s_addc_u32 s1, s1, _Z50ncclDevFunc_AllReduce_RING_SIMPLE_Sum_f8e4m3_1_0_1v@rel32@hi+12
	s_mov_b64 s[4:5], s[48:49]
	s_mov_b64 s[6:7], s[38:39]
	;; [unrolled: 1-line block ×3, first 2 shown]
	s_mov_b32 s12, s55
	s_mov_b32 s13, s54
	;; [unrolled: 1-line block ×3, first 2 shown]
	v_mov_b32_e32 v31, v40
	s_swappc_b64 s[30:31], s[0:1]
.LBB0_354:                              ;   in Loop: Header=BB0_82 Depth=1
	s_mov_b64 s[0:1], 0
.LBB0_355:                              ;   in Loop: Header=BB0_82 Depth=1
	s_and_b64 vcc, exec, s[0:1]
	s_cbranch_vccz .LBB0_364
; %bb.356:                              ;   in Loop: Header=BB0_82 Depth=1
	s_sext_i32_i16 s0, s80
	s_cmpk_lt_i32 s0, 0x6a
	s_mov_b64 s[0:1], -1
	s_cbranch_scc1 .LBB0_362
; %bb.357:                              ;   in Loop: Header=BB0_82 Depth=1
	s_cmpk_lg_i32 s81, 0x6a
	s_cbranch_scc0 .LBB0_359
; %bb.358:                              ;   in Loop: Header=BB0_82 Depth=1
	s_add_u32 s8, s36, 0x1000
	s_addc_u32 s9, s37, 0
	s_getpc_b64 s[0:1]
	s_add_u32 s0, s0, _Z50ncclDevFunc_AllReduce_RING_SIMPLE_Sum_f8e4m3_0_0_1v@rel32@lo+4
	s_addc_u32 s1, s1, _Z50ncclDevFunc_AllReduce_RING_SIMPLE_Sum_f8e4m3_0_0_1v@rel32@hi+12
	s_mov_b64 s[4:5], s[48:49]
	s_mov_b64 s[6:7], s[38:39]
	;; [unrolled: 1-line block ×3, first 2 shown]
	s_mov_b32 s12, s55
	s_mov_b32 s13, s54
	;; [unrolled: 1-line block ×3, first 2 shown]
	v_mov_b32_e32 v31, v40
	s_swappc_b64 s[30:31], s[0:1]
	s_mov_b64 s[0:1], 0
.LBB0_359:                              ;   in Loop: Header=BB0_82 Depth=1
	s_andn2_b64 vcc, exec, s[0:1]
	s_cbranch_vccnz .LBB0_361
; %bb.360:                              ;   in Loop: Header=BB0_82 Depth=1
	s_add_u32 s8, s36, 0x1000
	s_addc_u32 s9, s37, 0
	s_getpc_b64 s[0:1]
	s_add_u32 s0, s0, _Z48ncclDevFunc_AllReduce_RING_SIMPLE_Sum_bf16_1_1_1v@rel32@lo+4
	s_addc_u32 s1, s1, _Z48ncclDevFunc_AllReduce_RING_SIMPLE_Sum_bf16_1_1_1v@rel32@hi+12
	s_mov_b64 s[4:5], s[48:49]
	s_mov_b64 s[6:7], s[38:39]
	;; [unrolled: 1-line block ×3, first 2 shown]
	s_mov_b32 s12, s55
	s_mov_b32 s13, s54
	s_mov_b32 s14, s33
	v_mov_b32_e32 v31, v40
	s_swappc_b64 s[30:31], s[0:1]
.LBB0_361:                              ;   in Loop: Header=BB0_82 Depth=1
	s_mov_b64 s[0:1], 0
.LBB0_362:                              ;   in Loop: Header=BB0_82 Depth=1
	s_andn2_b64 vcc, exec, s[0:1]
	s_cbranch_vccnz .LBB0_364
; %bb.363:                              ;   in Loop: Header=BB0_82 Depth=1
	s_add_u32 s8, s36, 0x1000
	s_addc_u32 s9, s37, 0
	s_getpc_b64 s[0:1]
	s_add_u32 s0, s0, _Z48ncclDevFunc_AllReduce_RING_SIMPLE_Sum_bf16_1_0_1v@rel32@lo+4
	s_addc_u32 s1, s1, _Z48ncclDevFunc_AllReduce_RING_SIMPLE_Sum_bf16_1_0_1v@rel32@hi+12
	s_mov_b64 s[4:5], s[48:49]
	s_mov_b64 s[6:7], s[38:39]
	;; [unrolled: 1-line block ×3, first 2 shown]
	s_mov_b32 s12, s55
	s_mov_b32 s13, s54
	;; [unrolled: 1-line block ×3, first 2 shown]
	v_mov_b32_e32 v31, v40
	s_swappc_b64 s[30:31], s[0:1]
.LBB0_364:                              ;   in Loop: Header=BB0_82 Depth=1
	s_mov_b64 s[0:1], 0
.LBB0_365:                              ;   in Loop: Header=BB0_82 Depth=1
	s_andn2_b64 vcc, exec, s[0:1]
	s_cbranch_vccnz .LBB0_381
; %bb.366:                              ;   in Loop: Header=BB0_82 Depth=1
	s_cmpk_gt_u32 s81, 0x65
	s_mov_b64 s[0:1], -1
	s_cbranch_scc0 .LBB0_376
; %bb.367:                              ;   in Loop: Header=BB0_82 Depth=1
	s_sext_i32_i16 s0, s80
	s_cmpk_lt_i32 s0, 0x67
	s_mov_b64 s[0:1], -1
	s_cbranch_scc1 .LBB0_373
; %bb.368:                              ;   in Loop: Header=BB0_82 Depth=1
	s_cmpk_lg_i32 s81, 0x67
	s_cbranch_scc0 .LBB0_370
; %bb.369:                              ;   in Loop: Header=BB0_82 Depth=1
	s_add_u32 s8, s36, 0x1000
	s_addc_u32 s9, s37, 0
	s_getpc_b64 s[0:1]
	s_add_u32 s0, s0, _Z48ncclDevFunc_AllReduce_RING_SIMPLE_Sum_bf16_0_1_1v@rel32@lo+4
	s_addc_u32 s1, s1, _Z48ncclDevFunc_AllReduce_RING_SIMPLE_Sum_bf16_0_1_1v@rel32@hi+12
	s_mov_b64 s[4:5], s[48:49]
	s_mov_b64 s[6:7], s[38:39]
	;; [unrolled: 1-line block ×3, first 2 shown]
	s_mov_b32 s12, s55
	s_mov_b32 s13, s54
	;; [unrolled: 1-line block ×3, first 2 shown]
	v_mov_b32_e32 v31, v40
	s_swappc_b64 s[30:31], s[0:1]
	s_mov_b64 s[0:1], 0
.LBB0_370:                              ;   in Loop: Header=BB0_82 Depth=1
	s_andn2_b64 vcc, exec, s[0:1]
	s_cbranch_vccnz .LBB0_372
; %bb.371:                              ;   in Loop: Header=BB0_82 Depth=1
	s_add_u32 s8, s36, 0x1000
	s_addc_u32 s9, s37, 0
	s_getpc_b64 s[0:1]
	s_add_u32 s0, s0, _Z48ncclDevFunc_AllReduce_RING_SIMPLE_Sum_bf16_0_0_1v@rel32@lo+4
	s_addc_u32 s1, s1, _Z48ncclDevFunc_AllReduce_RING_SIMPLE_Sum_bf16_0_0_1v@rel32@hi+12
	s_mov_b64 s[4:5], s[48:49]
	s_mov_b64 s[6:7], s[38:39]
	;; [unrolled: 1-line block ×3, first 2 shown]
	s_mov_b32 s12, s55
	s_mov_b32 s13, s54
	;; [unrolled: 1-line block ×3, first 2 shown]
	v_mov_b32_e32 v31, v40
	s_swappc_b64 s[30:31], s[0:1]
.LBB0_372:                              ;   in Loop: Header=BB0_82 Depth=1
	s_mov_b64 s[0:1], 0
.LBB0_373:                              ;   in Loop: Header=BB0_82 Depth=1
	s_andn2_b64 vcc, exec, s[0:1]
	s_cbranch_vccnz .LBB0_375
; %bb.374:                              ;   in Loop: Header=BB0_82 Depth=1
	s_add_u32 s8, s36, 0x1000
	s_addc_u32 s9, s37, 0
	s_getpc_b64 s[0:1]
	s_add_u32 s0, s0, _Z47ncclDevFunc_AllReduce_RING_SIMPLE_Sum_f64_1_0_1v@rel32@lo+4
	s_addc_u32 s1, s1, _Z47ncclDevFunc_AllReduce_RING_SIMPLE_Sum_f64_1_0_1v@rel32@hi+12
	s_mov_b64 s[4:5], s[48:49]
	s_mov_b64 s[6:7], s[38:39]
	;; [unrolled: 1-line block ×3, first 2 shown]
	s_mov_b32 s12, s55
	s_mov_b32 s13, s54
	;; [unrolled: 1-line block ×3, first 2 shown]
	v_mov_b32_e32 v31, v40
	s_swappc_b64 s[30:31], s[0:1]
.LBB0_375:                              ;   in Loop: Header=BB0_82 Depth=1
	s_mov_b64 s[0:1], 0
.LBB0_376:                              ;   in Loop: Header=BB0_82 Depth=1
	s_and_b64 vcc, exec, s[0:1]
	s_cbranch_vccz .LBB0_381
; %bb.377:                              ;   in Loop: Header=BB0_82 Depth=1
	s_cmpk_eq_i32 s81, 0x65
	s_mov_b64 s[0:1], -1
	s_cbranch_scc1 .LBB0_379
; %bb.378:                              ;   in Loop: Header=BB0_82 Depth=1
	s_add_u32 s8, s36, 0x1000
	s_addc_u32 s9, s37, 0
	s_getpc_b64 s[0:1]
	s_add_u32 s0, s0, _Z47ncclDevFunc_AllReduce_RING_SIMPLE_Sum_f32_1_0_1v@rel32@lo+4
	s_addc_u32 s1, s1, _Z47ncclDevFunc_AllReduce_RING_SIMPLE_Sum_f32_1_0_1v@rel32@hi+12
	s_mov_b64 s[4:5], s[48:49]
	s_mov_b64 s[6:7], s[38:39]
	;; [unrolled: 1-line block ×3, first 2 shown]
	s_mov_b32 s12, s55
	s_mov_b32 s13, s54
	;; [unrolled: 1-line block ×3, first 2 shown]
	v_mov_b32_e32 v31, v40
	s_swappc_b64 s[30:31], s[0:1]
	s_mov_b64 s[0:1], 0
.LBB0_379:                              ;   in Loop: Header=BB0_82 Depth=1
	s_andn2_b64 vcc, exec, s[0:1]
	s_cbranch_vccnz .LBB0_381
; %bb.380:                              ;   in Loop: Header=BB0_82 Depth=1
	s_add_u32 s8, s36, 0x1000
	s_addc_u32 s9, s37, 0
	s_getpc_b64 s[0:1]
	s_add_u32 s0, s0, _Z47ncclDevFunc_AllReduce_RING_SIMPLE_Sum_f64_0_0_1v@rel32@lo+4
	s_addc_u32 s1, s1, _Z47ncclDevFunc_AllReduce_RING_SIMPLE_Sum_f64_0_0_1v@rel32@hi+12
	s_mov_b64 s[4:5], s[48:49]
	s_mov_b64 s[6:7], s[38:39]
	;; [unrolled: 1-line block ×3, first 2 shown]
	s_mov_b32 s12, s55
	s_mov_b32 s13, s54
	;; [unrolled: 1-line block ×3, first 2 shown]
	v_mov_b32_e32 v31, v40
	s_swappc_b64 s[30:31], s[0:1]
.LBB0_381:                              ;   in Loop: Header=BB0_82 Depth=1
	s_mov_b64 s[0:1], 0
.LBB0_382:                              ;   in Loop: Header=BB0_82 Depth=1
	s_andn2_b64 vcc, exec, s[0:1]
	s_cbranch_vccnz .LBB0_420
; %bb.383:                              ;   in Loop: Header=BB0_82 Depth=1
	s_cmpk_gt_u32 s81, 0x5d
	s_mov_b64 s[0:1], -1
	s_cbranch_scc0 .LBB0_404
; %bb.384:                              ;   in Loop: Header=BB0_82 Depth=1
	s_cmpk_gt_u32 s81, 0x60
	s_cbranch_scc0 .LBB0_394
; %bb.385:                              ;   in Loop: Header=BB0_82 Depth=1
	s_sext_i32_i16 s0, s80
	s_cmpk_lt_i32 s0, 0x62
	s_mov_b64 s[0:1], -1
	s_cbranch_scc1 .LBB0_391
; %bb.386:                              ;   in Loop: Header=BB0_82 Depth=1
	s_cmpk_lg_i32 s81, 0x62
	s_cbranch_scc0 .LBB0_388
; %bb.387:                              ;   in Loop: Header=BB0_82 Depth=1
	s_add_u32 s8, s36, 0x1000
	s_addc_u32 s9, s37, 0
	s_getpc_b64 s[0:1]
	s_add_u32 s0, s0, _Z47ncclDevFunc_AllReduce_RING_SIMPLE_Sum_f32_0_0_1v@rel32@lo+4
	s_addc_u32 s1, s1, _Z47ncclDevFunc_AllReduce_RING_SIMPLE_Sum_f32_0_0_1v@rel32@hi+12
	s_mov_b64 s[4:5], s[48:49]
	s_mov_b64 s[6:7], s[38:39]
	;; [unrolled: 1-line block ×3, first 2 shown]
	s_mov_b32 s12, s55
	s_mov_b32 s13, s54
	;; [unrolled: 1-line block ×3, first 2 shown]
	v_mov_b32_e32 v31, v40
	s_swappc_b64 s[30:31], s[0:1]
	s_mov_b64 s[0:1], 0
.LBB0_388:                              ;   in Loop: Header=BB0_82 Depth=1
	s_andn2_b64 vcc, exec, s[0:1]
	s_cbranch_vccnz .LBB0_390
; %bb.389:                              ;   in Loop: Header=BB0_82 Depth=1
	s_add_u32 s8, s36, 0x1000
	s_addc_u32 s9, s37, 0
	s_getpc_b64 s[0:1]
	s_add_u32 s0, s0, _Z47ncclDevFunc_AllReduce_RING_SIMPLE_Sum_f16_1_0_1v@rel32@lo+4
	s_addc_u32 s1, s1, _Z47ncclDevFunc_AllReduce_RING_SIMPLE_Sum_f16_1_0_1v@rel32@hi+12
	s_mov_b64 s[4:5], s[48:49]
	s_mov_b64 s[6:7], s[38:39]
	;; [unrolled: 1-line block ×3, first 2 shown]
	s_mov_b32 s12, s55
	s_mov_b32 s13, s54
	;; [unrolled: 1-line block ×3, first 2 shown]
	v_mov_b32_e32 v31, v40
	s_swappc_b64 s[30:31], s[0:1]
.LBB0_390:                              ;   in Loop: Header=BB0_82 Depth=1
	s_mov_b64 s[0:1], 0
.LBB0_391:                              ;   in Loop: Header=BB0_82 Depth=1
	s_andn2_b64 vcc, exec, s[0:1]
	s_cbranch_vccnz .LBB0_393
; %bb.392:                              ;   in Loop: Header=BB0_82 Depth=1
	s_add_u32 s8, s36, 0x1000
	s_addc_u32 s9, s37, 0
	s_getpc_b64 s[0:1]
	s_add_u32 s0, s0, _Z47ncclDevFunc_AllReduce_RING_SIMPLE_Sum_f16_0_0_1v@rel32@lo+4
	s_addc_u32 s1, s1, _Z47ncclDevFunc_AllReduce_RING_SIMPLE_Sum_f16_0_0_1v@rel32@hi+12
	s_mov_b64 s[4:5], s[48:49]
	s_mov_b64 s[6:7], s[38:39]
	;; [unrolled: 1-line block ×3, first 2 shown]
	s_mov_b32 s12, s55
	s_mov_b32 s13, s54
	;; [unrolled: 1-line block ×3, first 2 shown]
	v_mov_b32_e32 v31, v40
	s_swappc_b64 s[30:31], s[0:1]
.LBB0_393:                              ;   in Loop: Header=BB0_82 Depth=1
	s_mov_b64 s[0:1], 0
.LBB0_394:                              ;   in Loop: Header=BB0_82 Depth=1
	s_and_b64 vcc, exec, s[0:1]
	s_cbranch_vccz .LBB0_403
; %bb.395:                              ;   in Loop: Header=BB0_82 Depth=1
	s_sext_i32_i16 s0, s80
	s_cmpk_lt_i32 s0, 0x5f
	s_mov_b64 s[0:1], -1
	s_cbranch_scc1 .LBB0_401
; %bb.396:                              ;   in Loop: Header=BB0_82 Depth=1
	s_cmpk_lg_i32 s81, 0x5f
	s_cbranch_scc0 .LBB0_398
; %bb.397:                              ;   in Loop: Header=BB0_82 Depth=1
	s_add_u32 s8, s36, 0x1000
	s_addc_u32 s9, s37, 0
	s_getpc_b64 s[0:1]
	s_add_u32 s0, s0, _Z47ncclDevFunc_AllReduce_RING_SIMPLE_Sum_u64_1_0_1v@rel32@lo+4
	s_addc_u32 s1, s1, _Z47ncclDevFunc_AllReduce_RING_SIMPLE_Sum_u64_1_0_1v@rel32@hi+12
	s_mov_b64 s[4:5], s[48:49]
	s_mov_b64 s[6:7], s[38:39]
	;; [unrolled: 1-line block ×3, first 2 shown]
	s_mov_b32 s12, s55
	s_mov_b32 s13, s54
	;; [unrolled: 1-line block ×3, first 2 shown]
	v_mov_b32_e32 v31, v40
	s_swappc_b64 s[30:31], s[0:1]
	s_mov_b64 s[0:1], 0
.LBB0_398:                              ;   in Loop: Header=BB0_82 Depth=1
	s_andn2_b64 vcc, exec, s[0:1]
	s_cbranch_vccnz .LBB0_400
; %bb.399:                              ;   in Loop: Header=BB0_82 Depth=1
	s_add_u32 s8, s36, 0x1000
	s_addc_u32 s9, s37, 0
	s_getpc_b64 s[0:1]
	s_add_u32 s0, s0, _Z47ncclDevFunc_AllReduce_RING_SIMPLE_Sum_u64_0_0_1v@rel32@lo+4
	s_addc_u32 s1, s1, _Z47ncclDevFunc_AllReduce_RING_SIMPLE_Sum_u64_0_0_1v@rel32@hi+12
	s_mov_b64 s[4:5], s[48:49]
	s_mov_b64 s[6:7], s[38:39]
	;; [unrolled: 1-line block ×3, first 2 shown]
	s_mov_b32 s12, s55
	s_mov_b32 s13, s54
	;; [unrolled: 1-line block ×3, first 2 shown]
	v_mov_b32_e32 v31, v40
	s_swappc_b64 s[30:31], s[0:1]
.LBB0_400:                              ;   in Loop: Header=BB0_82 Depth=1
	s_mov_b64 s[0:1], 0
.LBB0_401:                              ;   in Loop: Header=BB0_82 Depth=1
	s_andn2_b64 vcc, exec, s[0:1]
	s_cbranch_vccnz .LBB0_403
; %bb.402:                              ;   in Loop: Header=BB0_82 Depth=1
	s_add_u32 s8, s36, 0x1000
	s_addc_u32 s9, s37, 0
	s_getpc_b64 s[0:1]
	s_add_u32 s0, s0, _Z47ncclDevFunc_AllReduce_RING_SIMPLE_Sum_u32_1_0_1v@rel32@lo+4
	s_addc_u32 s1, s1, _Z47ncclDevFunc_AllReduce_RING_SIMPLE_Sum_u32_1_0_1v@rel32@hi+12
	s_mov_b64 s[4:5], s[48:49]
	s_mov_b64 s[6:7], s[38:39]
	;; [unrolled: 1-line block ×3, first 2 shown]
	s_mov_b32 s12, s55
	s_mov_b32 s13, s54
	;; [unrolled: 1-line block ×3, first 2 shown]
	v_mov_b32_e32 v31, v40
	s_swappc_b64 s[30:31], s[0:1]
.LBB0_403:                              ;   in Loop: Header=BB0_82 Depth=1
	s_mov_b64 s[0:1], 0
.LBB0_404:                              ;   in Loop: Header=BB0_82 Depth=1
	s_andn2_b64 vcc, exec, s[0:1]
	s_cbranch_vccnz .LBB0_420
; %bb.405:                              ;   in Loop: Header=BB0_82 Depth=1
	s_cmpk_gt_u32 s81, 0x5a
	s_mov_b64 s[0:1], -1
	s_cbranch_scc0 .LBB0_415
; %bb.406:                              ;   in Loop: Header=BB0_82 Depth=1
	s_sext_i32_i16 s0, s80
	s_cmpk_lt_i32 s0, 0x5c
	s_mov_b64 s[0:1], -1
	s_cbranch_scc1 .LBB0_412
; %bb.407:                              ;   in Loop: Header=BB0_82 Depth=1
	s_cmpk_lg_i32 s81, 0x5c
	s_cbranch_scc0 .LBB0_409
; %bb.408:                              ;   in Loop: Header=BB0_82 Depth=1
	s_add_u32 s8, s36, 0x1000
	s_addc_u32 s9, s37, 0
	s_getpc_b64 s[0:1]
	s_add_u32 s0, s0, _Z47ncclDevFunc_AllReduce_RING_SIMPLE_Sum_u32_0_0_1v@rel32@lo+4
	s_addc_u32 s1, s1, _Z47ncclDevFunc_AllReduce_RING_SIMPLE_Sum_u32_0_0_1v@rel32@hi+12
	s_mov_b64 s[4:5], s[48:49]
	s_mov_b64 s[6:7], s[38:39]
	;; [unrolled: 1-line block ×3, first 2 shown]
	s_mov_b32 s12, s55
	s_mov_b32 s13, s54
	s_mov_b32 s14, s33
	v_mov_b32_e32 v31, v40
	s_swappc_b64 s[30:31], s[0:1]
	s_mov_b64 s[0:1], 0
.LBB0_409:                              ;   in Loop: Header=BB0_82 Depth=1
	s_andn2_b64 vcc, exec, s[0:1]
	s_cbranch_vccnz .LBB0_411
; %bb.410:                              ;   in Loop: Header=BB0_82 Depth=1
	s_add_u32 s8, s36, 0x1000
	s_addc_u32 s9, s37, 0
	s_getpc_b64 s[0:1]
	s_add_u32 s0, s0, _Z46ncclDevFunc_AllReduce_RING_SIMPLE_Sum_u8_1_0_1v@rel32@lo+4
	s_addc_u32 s1, s1, _Z46ncclDevFunc_AllReduce_RING_SIMPLE_Sum_u8_1_0_1v@rel32@hi+12
	s_mov_b64 s[4:5], s[48:49]
	s_mov_b64 s[6:7], s[38:39]
	;; [unrolled: 1-line block ×3, first 2 shown]
	s_mov_b32 s12, s55
	s_mov_b32 s13, s54
	;; [unrolled: 1-line block ×3, first 2 shown]
	v_mov_b32_e32 v31, v40
	s_swappc_b64 s[30:31], s[0:1]
.LBB0_411:                              ;   in Loop: Header=BB0_82 Depth=1
	s_mov_b64 s[0:1], 0
.LBB0_412:                              ;   in Loop: Header=BB0_82 Depth=1
	s_andn2_b64 vcc, exec, s[0:1]
	s_cbranch_vccnz .LBB0_414
; %bb.413:                              ;   in Loop: Header=BB0_82 Depth=1
	s_add_u32 s8, s36, 0x1000
	s_addc_u32 s9, s37, 0
	s_getpc_b64 s[0:1]
	s_add_u32 s0, s0, _Z46ncclDevFunc_AllReduce_RING_SIMPLE_Sum_u8_0_0_1v@rel32@lo+4
	s_addc_u32 s1, s1, _Z46ncclDevFunc_AllReduce_RING_SIMPLE_Sum_u8_0_0_1v@rel32@hi+12
	s_mov_b64 s[4:5], s[48:49]
	s_mov_b64 s[6:7], s[38:39]
	;; [unrolled: 1-line block ×3, first 2 shown]
	s_mov_b32 s12, s55
	s_mov_b32 s13, s54
	;; [unrolled: 1-line block ×3, first 2 shown]
	v_mov_b32_e32 v31, v40
	s_swappc_b64 s[30:31], s[0:1]
.LBB0_414:                              ;   in Loop: Header=BB0_82 Depth=1
	s_mov_b64 s[0:1], 0
.LBB0_415:                              ;   in Loop: Header=BB0_82 Depth=1
	s_and_b64 vcc, exec, s[0:1]
	s_cbranch_vccz .LBB0_420
; %bb.416:                              ;   in Loop: Header=BB0_82 Depth=1
	s_cmpk_eq_i32 s81, 0x5a
	s_mov_b64 s[0:1], -1
	s_cbranch_scc1 .LBB0_418
; %bb.417:                              ;   in Loop: Header=BB0_82 Depth=1
	s_add_u32 s8, s36, 0x1000
	s_addc_u32 s9, s37, 0
	s_getpc_b64 s[0:1]
	s_add_u32 s0, s0, _Z54ncclDevFunc_ReduceScatter_RING_LL_SumPostDiv_u32_0_0_1v@rel32@lo+4
	s_addc_u32 s1, s1, _Z54ncclDevFunc_ReduceScatter_RING_LL_SumPostDiv_u32_0_0_1v@rel32@hi+12
	s_mov_b64 s[4:5], s[48:49]
	s_mov_b64 s[6:7], s[38:39]
	;; [unrolled: 1-line block ×3, first 2 shown]
	s_mov_b32 s12, s55
	s_mov_b32 s13, s54
	;; [unrolled: 1-line block ×3, first 2 shown]
	v_mov_b32_e32 v31, v40
	s_swappc_b64 s[30:31], s[0:1]
	s_mov_b64 s[0:1], 0
.LBB0_418:                              ;   in Loop: Header=BB0_82 Depth=1
	s_andn2_b64 vcc, exec, s[0:1]
	s_cbranch_vccnz .LBB0_420
; %bb.419:                              ;   in Loop: Header=BB0_82 Depth=1
	s_add_u32 s8, s36, 0x1000
	s_addc_u32 s9, s37, 0
	s_getpc_b64 s[0:1]
	s_add_u32 s0, s0, _Z54ncclDevFunc_ReduceScatter_RING_LL_SumPostDiv_u64_0_0_1v@rel32@lo+4
	s_addc_u32 s1, s1, _Z54ncclDevFunc_ReduceScatter_RING_LL_SumPostDiv_u64_0_0_1v@rel32@hi+12
	s_mov_b64 s[4:5], s[48:49]
	s_mov_b64 s[6:7], s[38:39]
	;; [unrolled: 1-line block ×3, first 2 shown]
	s_mov_b32 s12, s55
	s_mov_b32 s13, s54
	;; [unrolled: 1-line block ×3, first 2 shown]
	v_mov_b32_e32 v31, v40
	s_swappc_b64 s[30:31], s[0:1]
.LBB0_420:                              ;   in Loop: Header=BB0_82 Depth=1
	s_mov_b64 s[0:1], 0
.LBB0_421:                              ;   in Loop: Header=BB0_82 Depth=1
	s_andn2_b64 vcc, exec, s[0:1]
	s_cbranch_vccnz .LBB0_732
; %bb.422:                              ;   in Loop: Header=BB0_82 Depth=1
	s_and_b32 s66, 0xffff, s80
	s_cmp_gt_u32 s66, 43
	s_mov_b64 s[0:1], -1
	s_cbranch_scc0 .LBB0_577
; %bb.423:                              ;   in Loop: Header=BB0_82 Depth=1
	s_cmpk_gt_u32 s66, 0x41
	s_cbranch_scc0 .LBB0_506
; %bb.424:                              ;   in Loop: Header=BB0_82 Depth=1
	s_cmpk_gt_u32 s66, 0x4c
	;; [unrolled: 3-line block ×4, first 2 shown]
	s_cbranch_scc0 .LBB0_436
; %bb.427:                              ;   in Loop: Header=BB0_82 Depth=1
	s_sext_i32_i16 s0, s80
	s_cmpk_lt_i32 s0, 0x57
	s_mov_b64 s[0:1], -1
	s_cbranch_scc1 .LBB0_433
; %bb.428:                              ;   in Loop: Header=BB0_82 Depth=1
	s_cmpk_lg_i32 s66, 0x57
	s_cbranch_scc0 .LBB0_430
; %bb.429:                              ;   in Loop: Header=BB0_82 Depth=1
	s_add_u32 s8, s36, 0x1000
	s_addc_u32 s9, s37, 0
	s_getpc_b64 s[0:1]
	s_add_u32 s0, s0, _Z53ncclDevFunc_ReduceScatter_RING_LL_SumPostDiv_u8_0_0_1v@rel32@lo+4
	s_addc_u32 s1, s1, _Z53ncclDevFunc_ReduceScatter_RING_LL_SumPostDiv_u8_0_0_1v@rel32@hi+12
	s_mov_b64 s[4:5], s[48:49]
	s_mov_b64 s[6:7], s[38:39]
	;; [unrolled: 1-line block ×3, first 2 shown]
	s_mov_b32 s12, s55
	s_mov_b32 s13, s54
	;; [unrolled: 1-line block ×3, first 2 shown]
	v_mov_b32_e32 v31, v40
	s_swappc_b64 s[30:31], s[0:1]
	s_mov_b64 s[0:1], 0
.LBB0_430:                              ;   in Loop: Header=BB0_82 Depth=1
	s_andn2_b64 vcc, exec, s[0:1]
	s_cbranch_vccnz .LBB0_432
; %bb.431:                              ;   in Loop: Header=BB0_82 Depth=1
	s_add_u32 s8, s36, 0x1000
	s_addc_u32 s9, s37, 0
	s_getpc_b64 s[0:1]
	s_add_u32 s0, s0, _Z56ncclDevFunc_ReduceScatter_RING_LL_PreMulSum_f8e5m2_0_0_1v@rel32@lo+4
	s_addc_u32 s1, s1, _Z56ncclDevFunc_ReduceScatter_RING_LL_PreMulSum_f8e5m2_0_0_1v@rel32@hi+12
	s_mov_b64 s[4:5], s[48:49]
	s_mov_b64 s[6:7], s[38:39]
	;; [unrolled: 1-line block ×3, first 2 shown]
	s_mov_b32 s12, s55
	s_mov_b32 s13, s54
	;; [unrolled: 1-line block ×3, first 2 shown]
	v_mov_b32_e32 v31, v40
	s_swappc_b64 s[30:31], s[0:1]
.LBB0_432:                              ;   in Loop: Header=BB0_82 Depth=1
	s_mov_b64 s[0:1], 0
.LBB0_433:                              ;   in Loop: Header=BB0_82 Depth=1
	s_andn2_b64 vcc, exec, s[0:1]
	s_cbranch_vccnz .LBB0_435
; %bb.434:                              ;   in Loop: Header=BB0_82 Depth=1
	s_add_u32 s8, s36, 0x1000
	s_addc_u32 s9, s37, 0
	s_getpc_b64 s[0:1]
	s_add_u32 s0, s0, _Z56ncclDevFunc_ReduceScatter_RING_LL_PreMulSum_f8e4m3_0_0_1v@rel32@lo+4
	s_addc_u32 s1, s1, _Z56ncclDevFunc_ReduceScatter_RING_LL_PreMulSum_f8e4m3_0_0_1v@rel32@hi+12
	s_mov_b64 s[4:5], s[48:49]
	s_mov_b64 s[6:7], s[38:39]
	;; [unrolled: 1-line block ×3, first 2 shown]
	s_mov_b32 s12, s55
	s_mov_b32 s13, s54
	;; [unrolled: 1-line block ×3, first 2 shown]
	v_mov_b32_e32 v31, v40
	s_swappc_b64 s[30:31], s[0:1]
.LBB0_435:                              ;   in Loop: Header=BB0_82 Depth=1
	s_mov_b64 s[0:1], 0
.LBB0_436:                              ;   in Loop: Header=BB0_82 Depth=1
	s_and_b64 vcc, exec, s[0:1]
	s_cbranch_vccz .LBB0_445
; %bb.437:                              ;   in Loop: Header=BB0_82 Depth=1
	s_sext_i32_i16 s0, s80
	s_cmpk_lt_i32 s0, 0x54
	s_mov_b64 s[0:1], -1
	s_cbranch_scc1 .LBB0_443
; %bb.438:                              ;   in Loop: Header=BB0_82 Depth=1
	s_cmpk_lg_i32 s66, 0x54
	s_cbranch_scc0 .LBB0_440
; %bb.439:                              ;   in Loop: Header=BB0_82 Depth=1
	s_add_u32 s8, s36, 0x1000
	s_addc_u32 s9, s37, 0
	s_getpc_b64 s[0:1]
	s_add_u32 s0, s0, _Z54ncclDevFunc_ReduceScatter_RING_LL_PreMulSum_bf16_0_0_1v@rel32@lo+4
	s_addc_u32 s1, s1, _Z54ncclDevFunc_ReduceScatter_RING_LL_PreMulSum_bf16_0_0_1v@rel32@hi+12
	s_mov_b64 s[4:5], s[48:49]
	s_mov_b64 s[6:7], s[38:39]
	;; [unrolled: 1-line block ×3, first 2 shown]
	s_mov_b32 s12, s55
	s_mov_b32 s13, s54
	;; [unrolled: 1-line block ×3, first 2 shown]
	v_mov_b32_e32 v31, v40
	s_swappc_b64 s[30:31], s[0:1]
	s_mov_b64 s[0:1], 0
.LBB0_440:                              ;   in Loop: Header=BB0_82 Depth=1
	s_andn2_b64 vcc, exec, s[0:1]
	s_cbranch_vccnz .LBB0_442
; %bb.441:                              ;   in Loop: Header=BB0_82 Depth=1
	s_add_u32 s8, s36, 0x1000
	s_addc_u32 s9, s37, 0
	s_getpc_b64 s[0:1]
	s_add_u32 s0, s0, _Z53ncclDevFunc_ReduceScatter_RING_LL_PreMulSum_f64_0_0_1v@rel32@lo+4
	s_addc_u32 s1, s1, _Z53ncclDevFunc_ReduceScatter_RING_LL_PreMulSum_f64_0_0_1v@rel32@hi+12
	s_mov_b64 s[4:5], s[48:49]
	s_mov_b64 s[6:7], s[38:39]
	;; [unrolled: 1-line block ×3, first 2 shown]
	s_mov_b32 s12, s55
	s_mov_b32 s13, s54
	;; [unrolled: 1-line block ×3, first 2 shown]
	v_mov_b32_e32 v31, v40
	s_swappc_b64 s[30:31], s[0:1]
.LBB0_442:                              ;   in Loop: Header=BB0_82 Depth=1
	s_mov_b64 s[0:1], 0
.LBB0_443:                              ;   in Loop: Header=BB0_82 Depth=1
	s_andn2_b64 vcc, exec, s[0:1]
	s_cbranch_vccnz .LBB0_445
; %bb.444:                              ;   in Loop: Header=BB0_82 Depth=1
	s_add_u32 s8, s36, 0x1000
	s_addc_u32 s9, s37, 0
	s_getpc_b64 s[0:1]
	s_add_u32 s0, s0, _Z53ncclDevFunc_ReduceScatter_RING_LL_PreMulSum_f32_0_0_1v@rel32@lo+4
	s_addc_u32 s1, s1, _Z53ncclDevFunc_ReduceScatter_RING_LL_PreMulSum_f32_0_0_1v@rel32@hi+12
	s_mov_b64 s[4:5], s[48:49]
	s_mov_b64 s[6:7], s[38:39]
	;; [unrolled: 1-line block ×3, first 2 shown]
	s_mov_b32 s12, s55
	s_mov_b32 s13, s54
	;; [unrolled: 1-line block ×3, first 2 shown]
	v_mov_b32_e32 v31, v40
	s_swappc_b64 s[30:31], s[0:1]
.LBB0_445:                              ;   in Loop: Header=BB0_82 Depth=1
	s_mov_b64 s[0:1], 0
.LBB0_446:                              ;   in Loop: Header=BB0_82 Depth=1
	s_andn2_b64 vcc, exec, s[0:1]
	s_cbranch_vccnz .LBB0_466
; %bb.447:                              ;   in Loop: Header=BB0_82 Depth=1
	s_cmpk_gt_u32 s66, 0x4f
	s_mov_b64 s[0:1], -1
	s_cbranch_scc0 .LBB0_457
; %bb.448:                              ;   in Loop: Header=BB0_82 Depth=1
	s_sext_i32_i16 s0, s80
	s_cmpk_lt_i32 s0, 0x51
	s_mov_b64 s[0:1], -1
	s_cbranch_scc1 .LBB0_454
; %bb.449:                              ;   in Loop: Header=BB0_82 Depth=1
	s_cmpk_lg_i32 s66, 0x51
	s_cbranch_scc0 .LBB0_451
; %bb.450:                              ;   in Loop: Header=BB0_82 Depth=1
	s_add_u32 s8, s36, 0x1000
	s_addc_u32 s9, s37, 0
	s_getpc_b64 s[0:1]
	s_add_u32 s0, s0, _Z53ncclDevFunc_ReduceScatter_RING_LL_PreMulSum_f16_0_0_1v@rel32@lo+4
	s_addc_u32 s1, s1, _Z53ncclDevFunc_ReduceScatter_RING_LL_PreMulSum_f16_0_0_1v@rel32@hi+12
	s_mov_b64 s[4:5], s[48:49]
	s_mov_b64 s[6:7], s[38:39]
	;; [unrolled: 1-line block ×3, first 2 shown]
	s_mov_b32 s12, s55
	s_mov_b32 s13, s54
	;; [unrolled: 1-line block ×3, first 2 shown]
	v_mov_b32_e32 v31, v40
	s_swappc_b64 s[30:31], s[0:1]
	s_mov_b64 s[0:1], 0
.LBB0_451:                              ;   in Loop: Header=BB0_82 Depth=1
	s_andn2_b64 vcc, exec, s[0:1]
	s_cbranch_vccnz .LBB0_453
; %bb.452:                              ;   in Loop: Header=BB0_82 Depth=1
	s_add_u32 s8, s36, 0x1000
	s_addc_u32 s9, s37, 0
	s_getpc_b64 s[0:1]
	s_add_u32 s0, s0, _Z53ncclDevFunc_ReduceScatter_RING_LL_PreMulSum_u64_0_0_1v@rel32@lo+4
	s_addc_u32 s1, s1, _Z53ncclDevFunc_ReduceScatter_RING_LL_PreMulSum_u64_0_0_1v@rel32@hi+12
	s_mov_b64 s[4:5], s[48:49]
	s_mov_b64 s[6:7], s[38:39]
	;; [unrolled: 1-line block ×3, first 2 shown]
	s_mov_b32 s12, s55
	s_mov_b32 s13, s54
	;; [unrolled: 1-line block ×3, first 2 shown]
	v_mov_b32_e32 v31, v40
	s_swappc_b64 s[30:31], s[0:1]
.LBB0_453:                              ;   in Loop: Header=BB0_82 Depth=1
	s_mov_b64 s[0:1], 0
.LBB0_454:                              ;   in Loop: Header=BB0_82 Depth=1
	s_andn2_b64 vcc, exec, s[0:1]
	s_cbranch_vccnz .LBB0_456
; %bb.455:                              ;   in Loop: Header=BB0_82 Depth=1
	s_add_u32 s8, s36, 0x1000
	s_addc_u32 s9, s37, 0
	s_getpc_b64 s[0:1]
	s_add_u32 s0, s0, _Z53ncclDevFunc_ReduceScatter_RING_LL_PreMulSum_u32_0_0_1v@rel32@lo+4
	s_addc_u32 s1, s1, _Z53ncclDevFunc_ReduceScatter_RING_LL_PreMulSum_u32_0_0_1v@rel32@hi+12
	s_mov_b64 s[4:5], s[48:49]
	s_mov_b64 s[6:7], s[38:39]
	;; [unrolled: 1-line block ×3, first 2 shown]
	s_mov_b32 s12, s55
	s_mov_b32 s13, s54
	;; [unrolled: 1-line block ×3, first 2 shown]
	v_mov_b32_e32 v31, v40
	s_swappc_b64 s[30:31], s[0:1]
.LBB0_456:                              ;   in Loop: Header=BB0_82 Depth=1
	s_mov_b64 s[0:1], 0
.LBB0_457:                              ;   in Loop: Header=BB0_82 Depth=1
	s_and_b64 vcc, exec, s[0:1]
	s_cbranch_vccz .LBB0_466
; %bb.458:                              ;   in Loop: Header=BB0_82 Depth=1
	s_sext_i32_i16 s0, s80
	s_cmpk_lt_i32 s0, 0x4e
	s_mov_b64 s[0:1], -1
	s_cbranch_scc1 .LBB0_464
; %bb.459:                              ;   in Loop: Header=BB0_82 Depth=1
	s_cmpk_lg_i32 s66, 0x4e
	s_cbranch_scc0 .LBB0_461
; %bb.460:                              ;   in Loop: Header=BB0_82 Depth=1
	s_add_u32 s8, s36, 0x1000
	s_addc_u32 s9, s37, 0
	s_getpc_b64 s[0:1]
	s_add_u32 s0, s0, _Z52ncclDevFunc_ReduceScatter_RING_LL_PreMulSum_u8_0_0_1v@rel32@lo+4
	s_addc_u32 s1, s1, _Z52ncclDevFunc_ReduceScatter_RING_LL_PreMulSum_u8_0_0_1v@rel32@hi+12
	s_mov_b64 s[4:5], s[48:49]
	s_mov_b64 s[6:7], s[38:39]
	;; [unrolled: 1-line block ×3, first 2 shown]
	s_mov_b32 s12, s55
	s_mov_b32 s13, s54
	;; [unrolled: 1-line block ×3, first 2 shown]
	v_mov_b32_e32 v31, v40
	s_swappc_b64 s[30:31], s[0:1]
	s_mov_b64 s[0:1], 0
.LBB0_461:                              ;   in Loop: Header=BB0_82 Depth=1
	s_andn2_b64 vcc, exec, s[0:1]
	s_cbranch_vccnz .LBB0_463
; %bb.462:                              ;   in Loop: Header=BB0_82 Depth=1
	s_add_u32 s8, s36, 0x1000
	s_addc_u32 s9, s37, 0
	s_getpc_b64 s[0:1]
	s_add_u32 s0, s0, _Z53ncclDevFunc_ReduceScatter_RING_LL_MinMax_f8e5m2_0_0_1v@rel32@lo+4
	s_addc_u32 s1, s1, _Z53ncclDevFunc_ReduceScatter_RING_LL_MinMax_f8e5m2_0_0_1v@rel32@hi+12
	s_mov_b64 s[4:5], s[48:49]
	s_mov_b64 s[6:7], s[38:39]
	;; [unrolled: 1-line block ×3, first 2 shown]
	s_mov_b32 s12, s55
	s_mov_b32 s13, s54
	;; [unrolled: 1-line block ×3, first 2 shown]
	v_mov_b32_e32 v31, v40
	s_swappc_b64 s[30:31], s[0:1]
.LBB0_463:                              ;   in Loop: Header=BB0_82 Depth=1
	s_mov_b64 s[0:1], 0
.LBB0_464:                              ;   in Loop: Header=BB0_82 Depth=1
	s_andn2_b64 vcc, exec, s[0:1]
	s_cbranch_vccnz .LBB0_466
; %bb.465:                              ;   in Loop: Header=BB0_82 Depth=1
	s_add_u32 s8, s36, 0x1000
	s_addc_u32 s9, s37, 0
	s_getpc_b64 s[0:1]
	s_add_u32 s0, s0, _Z53ncclDevFunc_ReduceScatter_RING_LL_MinMax_f8e4m3_0_0_1v@rel32@lo+4
	s_addc_u32 s1, s1, _Z53ncclDevFunc_ReduceScatter_RING_LL_MinMax_f8e4m3_0_0_1v@rel32@hi+12
	s_mov_b64 s[4:5], s[48:49]
	s_mov_b64 s[6:7], s[38:39]
	;; [unrolled: 1-line block ×3, first 2 shown]
	s_mov_b32 s12, s55
	s_mov_b32 s13, s54
	;; [unrolled: 1-line block ×3, first 2 shown]
	v_mov_b32_e32 v31, v40
	s_swappc_b64 s[30:31], s[0:1]
.LBB0_466:                              ;   in Loop: Header=BB0_82 Depth=1
	s_mov_b64 s[0:1], 0
.LBB0_467:                              ;   in Loop: Header=BB0_82 Depth=1
	s_andn2_b64 vcc, exec, s[0:1]
	s_cbranch_vccnz .LBB0_505
; %bb.468:                              ;   in Loop: Header=BB0_82 Depth=1
	s_cmpk_gt_u32 s66, 0x46
	s_mov_b64 s[0:1], -1
	s_cbranch_scc0 .LBB0_489
; %bb.469:                              ;   in Loop: Header=BB0_82 Depth=1
	s_cmpk_gt_u32 s66, 0x49
	s_cbranch_scc0 .LBB0_479
; %bb.470:                              ;   in Loop: Header=BB0_82 Depth=1
	s_sext_i32_i16 s0, s80
	s_cmpk_lt_i32 s0, 0x4b
	s_mov_b64 s[0:1], -1
	s_cbranch_scc1 .LBB0_476
; %bb.471:                              ;   in Loop: Header=BB0_82 Depth=1
	s_cmpk_lg_i32 s66, 0x4b
	s_cbranch_scc0 .LBB0_473
; %bb.472:                              ;   in Loop: Header=BB0_82 Depth=1
	s_add_u32 s8, s36, 0x1000
	s_addc_u32 s9, s37, 0
	s_getpc_b64 s[0:1]
	s_add_u32 s0, s0, _Z51ncclDevFunc_ReduceScatter_RING_LL_MinMax_bf16_0_0_1v@rel32@lo+4
	s_addc_u32 s1, s1, _Z51ncclDevFunc_ReduceScatter_RING_LL_MinMax_bf16_0_0_1v@rel32@hi+12
	s_mov_b64 s[4:5], s[48:49]
	s_mov_b64 s[6:7], s[38:39]
	;; [unrolled: 1-line block ×3, first 2 shown]
	s_mov_b32 s12, s55
	s_mov_b32 s13, s54
	;; [unrolled: 1-line block ×3, first 2 shown]
	v_mov_b32_e32 v31, v40
	s_swappc_b64 s[30:31], s[0:1]
	s_mov_b64 s[0:1], 0
.LBB0_473:                              ;   in Loop: Header=BB0_82 Depth=1
	s_andn2_b64 vcc, exec, s[0:1]
	s_cbranch_vccnz .LBB0_475
; %bb.474:                              ;   in Loop: Header=BB0_82 Depth=1
	s_add_u32 s8, s36, 0x1000
	s_addc_u32 s9, s37, 0
	s_getpc_b64 s[0:1]
	s_add_u32 s0, s0, _Z50ncclDevFunc_ReduceScatter_RING_LL_MinMax_f64_0_0_1v@rel32@lo+4
	s_addc_u32 s1, s1, _Z50ncclDevFunc_ReduceScatter_RING_LL_MinMax_f64_0_0_1v@rel32@hi+12
	s_mov_b64 s[4:5], s[48:49]
	s_mov_b64 s[6:7], s[38:39]
	s_mov_b64 s[10:11], s[34:35]
	s_mov_b32 s12, s55
	s_mov_b32 s13, s54
	;; [unrolled: 1-line block ×3, first 2 shown]
	v_mov_b32_e32 v31, v40
	s_swappc_b64 s[30:31], s[0:1]
.LBB0_475:                              ;   in Loop: Header=BB0_82 Depth=1
	s_mov_b64 s[0:1], 0
.LBB0_476:                              ;   in Loop: Header=BB0_82 Depth=1
	s_andn2_b64 vcc, exec, s[0:1]
	s_cbranch_vccnz .LBB0_478
; %bb.477:                              ;   in Loop: Header=BB0_82 Depth=1
	s_add_u32 s8, s36, 0x1000
	s_addc_u32 s9, s37, 0
	s_getpc_b64 s[0:1]
	s_add_u32 s0, s0, _Z50ncclDevFunc_ReduceScatter_RING_LL_MinMax_f32_0_0_1v@rel32@lo+4
	s_addc_u32 s1, s1, _Z50ncclDevFunc_ReduceScatter_RING_LL_MinMax_f32_0_0_1v@rel32@hi+12
	s_mov_b64 s[4:5], s[48:49]
	s_mov_b64 s[6:7], s[38:39]
	;; [unrolled: 1-line block ×3, first 2 shown]
	s_mov_b32 s12, s55
	s_mov_b32 s13, s54
	;; [unrolled: 1-line block ×3, first 2 shown]
	v_mov_b32_e32 v31, v40
	s_swappc_b64 s[30:31], s[0:1]
.LBB0_478:                              ;   in Loop: Header=BB0_82 Depth=1
	s_mov_b64 s[0:1], 0
.LBB0_479:                              ;   in Loop: Header=BB0_82 Depth=1
	s_and_b64 vcc, exec, s[0:1]
	s_cbranch_vccz .LBB0_488
; %bb.480:                              ;   in Loop: Header=BB0_82 Depth=1
	s_sext_i32_i16 s0, s80
	s_cmpk_lt_i32 s0, 0x48
	s_mov_b64 s[0:1], -1
	s_cbranch_scc1 .LBB0_486
; %bb.481:                              ;   in Loop: Header=BB0_82 Depth=1
	s_cmpk_lg_i32 s66, 0x48
	s_cbranch_scc0 .LBB0_483
; %bb.482:                              ;   in Loop: Header=BB0_82 Depth=1
	s_add_u32 s8, s36, 0x1000
	s_addc_u32 s9, s37, 0
	s_getpc_b64 s[0:1]
	s_add_u32 s0, s0, _Z50ncclDevFunc_ReduceScatter_RING_LL_MinMax_f16_0_0_1v@rel32@lo+4
	s_addc_u32 s1, s1, _Z50ncclDevFunc_ReduceScatter_RING_LL_MinMax_f16_0_0_1v@rel32@hi+12
	s_mov_b64 s[4:5], s[48:49]
	s_mov_b64 s[6:7], s[38:39]
	;; [unrolled: 1-line block ×3, first 2 shown]
	s_mov_b32 s12, s55
	s_mov_b32 s13, s54
	;; [unrolled: 1-line block ×3, first 2 shown]
	v_mov_b32_e32 v31, v40
	s_swappc_b64 s[30:31], s[0:1]
	s_mov_b64 s[0:1], 0
.LBB0_483:                              ;   in Loop: Header=BB0_82 Depth=1
	s_andn2_b64 vcc, exec, s[0:1]
	s_cbranch_vccnz .LBB0_485
; %bb.484:                              ;   in Loop: Header=BB0_82 Depth=1
	s_add_u32 s8, s36, 0x1000
	s_addc_u32 s9, s37, 0
	s_getpc_b64 s[0:1]
	s_add_u32 s0, s0, _Z50ncclDevFunc_ReduceScatter_RING_LL_MinMax_u64_0_0_1v@rel32@lo+4
	s_addc_u32 s1, s1, _Z50ncclDevFunc_ReduceScatter_RING_LL_MinMax_u64_0_0_1v@rel32@hi+12
	s_mov_b64 s[4:5], s[48:49]
	s_mov_b64 s[6:7], s[38:39]
	;; [unrolled: 1-line block ×3, first 2 shown]
	s_mov_b32 s12, s55
	s_mov_b32 s13, s54
	;; [unrolled: 1-line block ×3, first 2 shown]
	v_mov_b32_e32 v31, v40
	s_swappc_b64 s[30:31], s[0:1]
.LBB0_485:                              ;   in Loop: Header=BB0_82 Depth=1
	s_mov_b64 s[0:1], 0
.LBB0_486:                              ;   in Loop: Header=BB0_82 Depth=1
	s_andn2_b64 vcc, exec, s[0:1]
	s_cbranch_vccnz .LBB0_488
; %bb.487:                              ;   in Loop: Header=BB0_82 Depth=1
	s_add_u32 s8, s36, 0x1000
	s_addc_u32 s9, s37, 0
	s_getpc_b64 s[0:1]
	s_add_u32 s0, s0, _Z50ncclDevFunc_ReduceScatter_RING_LL_MinMax_u32_0_0_1v@rel32@lo+4
	s_addc_u32 s1, s1, _Z50ncclDevFunc_ReduceScatter_RING_LL_MinMax_u32_0_0_1v@rel32@hi+12
	s_mov_b64 s[4:5], s[48:49]
	s_mov_b64 s[6:7], s[38:39]
	;; [unrolled: 1-line block ×3, first 2 shown]
	s_mov_b32 s12, s55
	s_mov_b32 s13, s54
	;; [unrolled: 1-line block ×3, first 2 shown]
	v_mov_b32_e32 v31, v40
	s_swappc_b64 s[30:31], s[0:1]
.LBB0_488:                              ;   in Loop: Header=BB0_82 Depth=1
	s_mov_b64 s[0:1], 0
.LBB0_489:                              ;   in Loop: Header=BB0_82 Depth=1
	s_andn2_b64 vcc, exec, s[0:1]
	s_cbranch_vccnz .LBB0_505
; %bb.490:                              ;   in Loop: Header=BB0_82 Depth=1
	s_cmpk_gt_u32 s66, 0x43
	s_mov_b64 s[0:1], -1
	s_cbranch_scc0 .LBB0_500
; %bb.491:                              ;   in Loop: Header=BB0_82 Depth=1
	s_sext_i32_i16 s0, s80
	s_cmpk_lt_i32 s0, 0x45
	s_mov_b64 s[0:1], -1
	s_cbranch_scc1 .LBB0_497
; %bb.492:                              ;   in Loop: Header=BB0_82 Depth=1
	s_cmpk_lg_i32 s66, 0x45
	s_cbranch_scc0 .LBB0_494
; %bb.493:                              ;   in Loop: Header=BB0_82 Depth=1
	s_add_u32 s8, s36, 0x1000
	s_addc_u32 s9, s37, 0
	s_getpc_b64 s[0:1]
	s_add_u32 s0, s0, _Z49ncclDevFunc_ReduceScatter_RING_LL_MinMax_u8_0_0_1v@rel32@lo+4
	s_addc_u32 s1, s1, _Z49ncclDevFunc_ReduceScatter_RING_LL_MinMax_u8_0_0_1v@rel32@hi+12
	s_mov_b64 s[4:5], s[48:49]
	s_mov_b64 s[6:7], s[38:39]
	;; [unrolled: 1-line block ×3, first 2 shown]
	s_mov_b32 s12, s55
	s_mov_b32 s13, s54
	;; [unrolled: 1-line block ×3, first 2 shown]
	v_mov_b32_e32 v31, v40
	s_swappc_b64 s[30:31], s[0:1]
	s_mov_b64 s[0:1], 0
.LBB0_494:                              ;   in Loop: Header=BB0_82 Depth=1
	s_andn2_b64 vcc, exec, s[0:1]
	s_cbranch_vccnz .LBB0_496
; %bb.495:                              ;   in Loop: Header=BB0_82 Depth=1
	s_add_u32 s8, s36, 0x1000
	s_addc_u32 s9, s37, 0
	s_getpc_b64 s[0:1]
	s_add_u32 s0, s0, _Z51ncclDevFunc_ReduceScatter_RING_LL_Prod_f8e5m2_0_0_1v@rel32@lo+4
	s_addc_u32 s1, s1, _Z51ncclDevFunc_ReduceScatter_RING_LL_Prod_f8e5m2_0_0_1v@rel32@hi+12
	s_mov_b64 s[4:5], s[48:49]
	s_mov_b64 s[6:7], s[38:39]
	;; [unrolled: 1-line block ×3, first 2 shown]
	s_mov_b32 s12, s55
	s_mov_b32 s13, s54
	;; [unrolled: 1-line block ×3, first 2 shown]
	v_mov_b32_e32 v31, v40
	s_swappc_b64 s[30:31], s[0:1]
.LBB0_496:                              ;   in Loop: Header=BB0_82 Depth=1
	s_mov_b64 s[0:1], 0
.LBB0_497:                              ;   in Loop: Header=BB0_82 Depth=1
	s_andn2_b64 vcc, exec, s[0:1]
	s_cbranch_vccnz .LBB0_499
; %bb.498:                              ;   in Loop: Header=BB0_82 Depth=1
	s_add_u32 s8, s36, 0x1000
	s_addc_u32 s9, s37, 0
	s_getpc_b64 s[0:1]
	s_add_u32 s0, s0, _Z51ncclDevFunc_ReduceScatter_RING_LL_Prod_f8e4m3_0_0_1v@rel32@lo+4
	s_addc_u32 s1, s1, _Z51ncclDevFunc_ReduceScatter_RING_LL_Prod_f8e4m3_0_0_1v@rel32@hi+12
	s_mov_b64 s[4:5], s[48:49]
	s_mov_b64 s[6:7], s[38:39]
	s_mov_b64 s[10:11], s[34:35]
	s_mov_b32 s12, s55
	s_mov_b32 s13, s54
	;; [unrolled: 1-line block ×3, first 2 shown]
	v_mov_b32_e32 v31, v40
	s_swappc_b64 s[30:31], s[0:1]
.LBB0_499:                              ;   in Loop: Header=BB0_82 Depth=1
	s_mov_b64 s[0:1], 0
.LBB0_500:                              ;   in Loop: Header=BB0_82 Depth=1
	s_and_b64 vcc, exec, s[0:1]
	s_cbranch_vccz .LBB0_505
; %bb.501:                              ;   in Loop: Header=BB0_82 Depth=1
	s_cmpk_eq_i32 s66, 0x43
	s_mov_b64 s[0:1], -1
	s_cbranch_scc1 .LBB0_503
; %bb.502:                              ;   in Loop: Header=BB0_82 Depth=1
	s_add_u32 s8, s36, 0x1000
	s_addc_u32 s9, s37, 0
	s_getpc_b64 s[0:1]
	s_add_u32 s0, s0, _Z48ncclDevFunc_ReduceScatter_RING_LL_Prod_f64_0_0_1v@rel32@lo+4
	s_addc_u32 s1, s1, _Z48ncclDevFunc_ReduceScatter_RING_LL_Prod_f64_0_0_1v@rel32@hi+12
	s_mov_b64 s[4:5], s[48:49]
	s_mov_b64 s[6:7], s[38:39]
	;; [unrolled: 1-line block ×3, first 2 shown]
	s_mov_b32 s12, s55
	s_mov_b32 s13, s54
	;; [unrolled: 1-line block ×3, first 2 shown]
	v_mov_b32_e32 v31, v40
	s_swappc_b64 s[30:31], s[0:1]
	s_mov_b64 s[0:1], 0
.LBB0_503:                              ;   in Loop: Header=BB0_82 Depth=1
	s_andn2_b64 vcc, exec, s[0:1]
	s_cbranch_vccnz .LBB0_505
; %bb.504:                              ;   in Loop: Header=BB0_82 Depth=1
	s_add_u32 s8, s36, 0x1000
	s_addc_u32 s9, s37, 0
	s_getpc_b64 s[0:1]
	s_add_u32 s0, s0, _Z49ncclDevFunc_ReduceScatter_RING_LL_Prod_bf16_0_0_1v@rel32@lo+4
	s_addc_u32 s1, s1, _Z49ncclDevFunc_ReduceScatter_RING_LL_Prod_bf16_0_0_1v@rel32@hi+12
	s_mov_b64 s[4:5], s[48:49]
	s_mov_b64 s[6:7], s[38:39]
	;; [unrolled: 1-line block ×3, first 2 shown]
	s_mov_b32 s12, s55
	s_mov_b32 s13, s54
	s_mov_b32 s14, s33
	v_mov_b32_e32 v31, v40
	s_swappc_b64 s[30:31], s[0:1]
.LBB0_505:                              ;   in Loop: Header=BB0_82 Depth=1
	s_mov_b64 s[0:1], 0
.LBB0_506:                              ;   in Loop: Header=BB0_82 Depth=1
	s_andn2_b64 vcc, exec, s[0:1]
	s_cbranch_vccnz .LBB0_576
; %bb.507:                              ;   in Loop: Header=BB0_82 Depth=1
	s_cmp_gt_u32 s66, 54
	s_mov_b64 s[0:1], -1
	s_cbranch_scc0 .LBB0_546
; %bb.508:                              ;   in Loop: Header=BB0_82 Depth=1
	s_cmp_gt_u32 s66, 59
	s_cbranch_scc0 .LBB0_529
; %bb.509:                              ;   in Loop: Header=BB0_82 Depth=1
	s_cmp_gt_u32 s66, 62
	s_cbranch_scc0 .LBB0_519
; %bb.510:                              ;   in Loop: Header=BB0_82 Depth=1
	s_sext_i32_i16 s0, s80
	s_cmp_lt_i32 s0, 64
	s_mov_b64 s[0:1], -1
	s_cbranch_scc1 .LBB0_516
; %bb.511:                              ;   in Loop: Header=BB0_82 Depth=1
	s_cmp_lg_u32 s66, 64
	s_cbranch_scc0 .LBB0_513
; %bb.512:                              ;   in Loop: Header=BB0_82 Depth=1
	s_add_u32 s8, s36, 0x1000
	s_addc_u32 s9, s37, 0
	s_getpc_b64 s[0:1]
	s_add_u32 s0, s0, _Z48ncclDevFunc_ReduceScatter_RING_LL_Prod_f32_0_0_1v@rel32@lo+4
	s_addc_u32 s1, s1, _Z48ncclDevFunc_ReduceScatter_RING_LL_Prod_f32_0_0_1v@rel32@hi+12
	s_mov_b64 s[4:5], s[48:49]
	s_mov_b64 s[6:7], s[38:39]
	;; [unrolled: 1-line block ×3, first 2 shown]
	s_mov_b32 s12, s55
	s_mov_b32 s13, s54
	;; [unrolled: 1-line block ×3, first 2 shown]
	v_mov_b32_e32 v31, v40
	s_swappc_b64 s[30:31], s[0:1]
	s_mov_b64 s[0:1], 0
.LBB0_513:                              ;   in Loop: Header=BB0_82 Depth=1
	s_andn2_b64 vcc, exec, s[0:1]
	s_cbranch_vccnz .LBB0_515
; %bb.514:                              ;   in Loop: Header=BB0_82 Depth=1
	s_add_u32 s8, s36, 0x1000
	s_addc_u32 s9, s37, 0
	s_getpc_b64 s[0:1]
	s_add_u32 s0, s0, _Z48ncclDevFunc_ReduceScatter_RING_LL_Prod_f16_0_0_1v@rel32@lo+4
	s_addc_u32 s1, s1, _Z48ncclDevFunc_ReduceScatter_RING_LL_Prod_f16_0_0_1v@rel32@hi+12
	s_mov_b64 s[4:5], s[48:49]
	s_mov_b64 s[6:7], s[38:39]
	;; [unrolled: 1-line block ×3, first 2 shown]
	s_mov_b32 s12, s55
	s_mov_b32 s13, s54
	;; [unrolled: 1-line block ×3, first 2 shown]
	v_mov_b32_e32 v31, v40
	s_swappc_b64 s[30:31], s[0:1]
.LBB0_515:                              ;   in Loop: Header=BB0_82 Depth=1
	s_mov_b64 s[0:1], 0
.LBB0_516:                              ;   in Loop: Header=BB0_82 Depth=1
	s_andn2_b64 vcc, exec, s[0:1]
	s_cbranch_vccnz .LBB0_518
; %bb.517:                              ;   in Loop: Header=BB0_82 Depth=1
	s_add_u32 s8, s36, 0x1000
	s_addc_u32 s9, s37, 0
	s_getpc_b64 s[0:1]
	s_add_u32 s0, s0, _Z48ncclDevFunc_ReduceScatter_RING_LL_Prod_u64_0_0_1v@rel32@lo+4
	s_addc_u32 s1, s1, _Z48ncclDevFunc_ReduceScatter_RING_LL_Prod_u64_0_0_1v@rel32@hi+12
	s_mov_b64 s[4:5], s[48:49]
	s_mov_b64 s[6:7], s[38:39]
	;; [unrolled: 1-line block ×3, first 2 shown]
	s_mov_b32 s12, s55
	s_mov_b32 s13, s54
	;; [unrolled: 1-line block ×3, first 2 shown]
	v_mov_b32_e32 v31, v40
	s_swappc_b64 s[30:31], s[0:1]
.LBB0_518:                              ;   in Loop: Header=BB0_82 Depth=1
	s_mov_b64 s[0:1], 0
.LBB0_519:                              ;   in Loop: Header=BB0_82 Depth=1
	s_and_b64 vcc, exec, s[0:1]
	s_cbranch_vccz .LBB0_528
; %bb.520:                              ;   in Loop: Header=BB0_82 Depth=1
	s_sext_i32_i16 s0, s80
	s_cmp_lt_i32 s0, 61
	s_mov_b64 s[0:1], -1
	s_cbranch_scc1 .LBB0_526
; %bb.521:                              ;   in Loop: Header=BB0_82 Depth=1
	s_cmp_lg_u32 s66, 61
	s_cbranch_scc0 .LBB0_523
; %bb.522:                              ;   in Loop: Header=BB0_82 Depth=1
	s_add_u32 s8, s36, 0x1000
	s_addc_u32 s9, s37, 0
	s_getpc_b64 s[0:1]
	s_add_u32 s0, s0, _Z48ncclDevFunc_ReduceScatter_RING_LL_Prod_u32_0_0_1v@rel32@lo+4
	s_addc_u32 s1, s1, _Z48ncclDevFunc_ReduceScatter_RING_LL_Prod_u32_0_0_1v@rel32@hi+12
	s_mov_b64 s[4:5], s[48:49]
	s_mov_b64 s[6:7], s[38:39]
	;; [unrolled: 1-line block ×3, first 2 shown]
	s_mov_b32 s12, s55
	s_mov_b32 s13, s54
	;; [unrolled: 1-line block ×3, first 2 shown]
	v_mov_b32_e32 v31, v40
	s_swappc_b64 s[30:31], s[0:1]
	s_mov_b64 s[0:1], 0
.LBB0_523:                              ;   in Loop: Header=BB0_82 Depth=1
	s_andn2_b64 vcc, exec, s[0:1]
	s_cbranch_vccnz .LBB0_525
; %bb.524:                              ;   in Loop: Header=BB0_82 Depth=1
	s_add_u32 s8, s36, 0x1000
	s_addc_u32 s9, s37, 0
	s_getpc_b64 s[0:1]
	s_add_u32 s0, s0, _Z47ncclDevFunc_ReduceScatter_RING_LL_Prod_u8_0_0_1v@rel32@lo+4
	s_addc_u32 s1, s1, _Z47ncclDevFunc_ReduceScatter_RING_LL_Prod_u8_0_0_1v@rel32@hi+12
	s_mov_b64 s[4:5], s[48:49]
	s_mov_b64 s[6:7], s[38:39]
	;; [unrolled: 1-line block ×3, first 2 shown]
	s_mov_b32 s12, s55
	s_mov_b32 s13, s54
	;; [unrolled: 1-line block ×3, first 2 shown]
	v_mov_b32_e32 v31, v40
	s_swappc_b64 s[30:31], s[0:1]
.LBB0_525:                              ;   in Loop: Header=BB0_82 Depth=1
	s_mov_b64 s[0:1], 0
.LBB0_526:                              ;   in Loop: Header=BB0_82 Depth=1
	s_andn2_b64 vcc, exec, s[0:1]
	s_cbranch_vccnz .LBB0_528
; %bb.527:                              ;   in Loop: Header=BB0_82 Depth=1
	s_add_u32 s8, s36, 0x1000
	s_addc_u32 s9, s37, 0
	s_getpc_b64 s[0:1]
	s_add_u32 s0, s0, _Z50ncclDevFunc_ReduceScatter_RING_LL_Sum_f8e5m2_0_0_1v@rel32@lo+4
	s_addc_u32 s1, s1, _Z50ncclDevFunc_ReduceScatter_RING_LL_Sum_f8e5m2_0_0_1v@rel32@hi+12
	s_mov_b64 s[4:5], s[48:49]
	s_mov_b64 s[6:7], s[38:39]
	;; [unrolled: 1-line block ×3, first 2 shown]
	s_mov_b32 s12, s55
	s_mov_b32 s13, s54
	;; [unrolled: 1-line block ×3, first 2 shown]
	v_mov_b32_e32 v31, v40
	s_swappc_b64 s[30:31], s[0:1]
.LBB0_528:                              ;   in Loop: Header=BB0_82 Depth=1
	s_mov_b64 s[0:1], 0
.LBB0_529:                              ;   in Loop: Header=BB0_82 Depth=1
	s_andn2_b64 vcc, exec, s[0:1]
	s_cbranch_vccnz .LBB0_545
; %bb.530:                              ;   in Loop: Header=BB0_82 Depth=1
	s_cmp_gt_u32 s66, 56
	s_mov_b64 s[0:1], -1
	s_cbranch_scc0 .LBB0_540
; %bb.531:                              ;   in Loop: Header=BB0_82 Depth=1
	s_sext_i32_i16 s0, s80
	s_cmp_lt_i32 s0, 58
	s_mov_b64 s[0:1], -1
	s_cbranch_scc1 .LBB0_537
; %bb.532:                              ;   in Loop: Header=BB0_82 Depth=1
	s_cmp_lg_u32 s66, 58
	s_cbranch_scc0 .LBB0_534
; %bb.533:                              ;   in Loop: Header=BB0_82 Depth=1
	s_add_u32 s8, s36, 0x1000
	s_addc_u32 s9, s37, 0
	s_getpc_b64 s[0:1]
	s_add_u32 s0, s0, _Z50ncclDevFunc_ReduceScatter_RING_LL_Sum_f8e4m3_0_0_1v@rel32@lo+4
	s_addc_u32 s1, s1, _Z50ncclDevFunc_ReduceScatter_RING_LL_Sum_f8e4m3_0_0_1v@rel32@hi+12
	s_mov_b64 s[4:5], s[48:49]
	s_mov_b64 s[6:7], s[38:39]
	;; [unrolled: 1-line block ×3, first 2 shown]
	s_mov_b32 s12, s55
	s_mov_b32 s13, s54
	;; [unrolled: 1-line block ×3, first 2 shown]
	v_mov_b32_e32 v31, v40
	s_swappc_b64 s[30:31], s[0:1]
	s_mov_b64 s[0:1], 0
.LBB0_534:                              ;   in Loop: Header=BB0_82 Depth=1
	s_andn2_b64 vcc, exec, s[0:1]
	s_cbranch_vccnz .LBB0_536
; %bb.535:                              ;   in Loop: Header=BB0_82 Depth=1
	s_add_u32 s8, s36, 0x1000
	s_addc_u32 s9, s37, 0
	s_getpc_b64 s[0:1]
	s_add_u32 s0, s0, _Z48ncclDevFunc_ReduceScatter_RING_LL_Sum_bf16_0_0_1v@rel32@lo+4
	s_addc_u32 s1, s1, _Z48ncclDevFunc_ReduceScatter_RING_LL_Sum_bf16_0_0_1v@rel32@hi+12
	s_mov_b64 s[4:5], s[48:49]
	s_mov_b64 s[6:7], s[38:39]
	;; [unrolled: 1-line block ×3, first 2 shown]
	s_mov_b32 s12, s55
	s_mov_b32 s13, s54
	;; [unrolled: 1-line block ×3, first 2 shown]
	v_mov_b32_e32 v31, v40
	s_swappc_b64 s[30:31], s[0:1]
.LBB0_536:                              ;   in Loop: Header=BB0_82 Depth=1
	s_mov_b64 s[0:1], 0
.LBB0_537:                              ;   in Loop: Header=BB0_82 Depth=1
	s_andn2_b64 vcc, exec, s[0:1]
	s_cbranch_vccnz .LBB0_539
; %bb.538:                              ;   in Loop: Header=BB0_82 Depth=1
	s_add_u32 s8, s36, 0x1000
	s_addc_u32 s9, s37, 0
	s_getpc_b64 s[0:1]
	s_add_u32 s0, s0, _Z47ncclDevFunc_ReduceScatter_RING_LL_Sum_f64_0_0_1v@rel32@lo+4
	s_addc_u32 s1, s1, _Z47ncclDevFunc_ReduceScatter_RING_LL_Sum_f64_0_0_1v@rel32@hi+12
	s_mov_b64 s[4:5], s[48:49]
	s_mov_b64 s[6:7], s[38:39]
	;; [unrolled: 1-line block ×3, first 2 shown]
	s_mov_b32 s12, s55
	s_mov_b32 s13, s54
	s_mov_b32 s14, s33
	v_mov_b32_e32 v31, v40
	s_swappc_b64 s[30:31], s[0:1]
.LBB0_539:                              ;   in Loop: Header=BB0_82 Depth=1
	s_mov_b64 s[0:1], 0
.LBB0_540:                              ;   in Loop: Header=BB0_82 Depth=1
	s_and_b64 vcc, exec, s[0:1]
	s_cbranch_vccz .LBB0_545
; %bb.541:                              ;   in Loop: Header=BB0_82 Depth=1
	s_cmp_eq_u32 s66, 56
	s_mov_b64 s[0:1], -1
	s_cbranch_scc1 .LBB0_543
; %bb.542:                              ;   in Loop: Header=BB0_82 Depth=1
	s_add_u32 s8, s36, 0x1000
	s_addc_u32 s9, s37, 0
	s_getpc_b64 s[0:1]
	s_add_u32 s0, s0, _Z47ncclDevFunc_ReduceScatter_RING_LL_Sum_f16_0_0_1v@rel32@lo+4
	s_addc_u32 s1, s1, _Z47ncclDevFunc_ReduceScatter_RING_LL_Sum_f16_0_0_1v@rel32@hi+12
	s_mov_b64 s[4:5], s[48:49]
	s_mov_b64 s[6:7], s[38:39]
	;; [unrolled: 1-line block ×3, first 2 shown]
	s_mov_b32 s12, s55
	s_mov_b32 s13, s54
	;; [unrolled: 1-line block ×3, first 2 shown]
	v_mov_b32_e32 v31, v40
	s_swappc_b64 s[30:31], s[0:1]
	s_mov_b64 s[0:1], 0
.LBB0_543:                              ;   in Loop: Header=BB0_82 Depth=1
	s_andn2_b64 vcc, exec, s[0:1]
	s_cbranch_vccnz .LBB0_545
; %bb.544:                              ;   in Loop: Header=BB0_82 Depth=1
	s_add_u32 s8, s36, 0x1000
	s_addc_u32 s9, s37, 0
	s_getpc_b64 s[0:1]
	s_add_u32 s0, s0, _Z47ncclDevFunc_ReduceScatter_RING_LL_Sum_f32_0_0_1v@rel32@lo+4
	s_addc_u32 s1, s1, _Z47ncclDevFunc_ReduceScatter_RING_LL_Sum_f32_0_0_1v@rel32@hi+12
	s_mov_b64 s[4:5], s[48:49]
	s_mov_b64 s[6:7], s[38:39]
	;; [unrolled: 1-line block ×3, first 2 shown]
	s_mov_b32 s12, s55
	s_mov_b32 s13, s54
	;; [unrolled: 1-line block ×3, first 2 shown]
	v_mov_b32_e32 v31, v40
	s_swappc_b64 s[30:31], s[0:1]
.LBB0_545:                              ;   in Loop: Header=BB0_82 Depth=1
	s_mov_b64 s[0:1], 0
.LBB0_546:                              ;   in Loop: Header=BB0_82 Depth=1
	s_andn2_b64 vcc, exec, s[0:1]
	s_cbranch_vccnz .LBB0_576
; %bb.547:                              ;   in Loop: Header=BB0_82 Depth=1
	s_cmp_gt_u32 s66, 48
	s_mov_b64 s[0:1], -1
	s_cbranch_scc0 .LBB0_564
; %bb.548:                              ;   in Loop: Header=BB0_82 Depth=1
	s_cmp_gt_u32 s66, 51
	s_cbranch_scc0 .LBB0_558
; %bb.549:                              ;   in Loop: Header=BB0_82 Depth=1
	s_sext_i32_i16 s0, s80
	s_cmp_lt_i32 s0, 53
	s_mov_b64 s[0:1], -1
	s_cbranch_scc1 .LBB0_555
; %bb.550:                              ;   in Loop: Header=BB0_82 Depth=1
	s_cmp_lg_u32 s66, 53
	s_cbranch_scc0 .LBB0_552
; %bb.551:                              ;   in Loop: Header=BB0_82 Depth=1
	s_add_u32 s8, s36, 0x1000
	s_addc_u32 s9, s37, 0
	s_getpc_b64 s[0:1]
	s_add_u32 s0, s0, _Z47ncclDevFunc_ReduceScatter_RING_LL_Sum_u64_0_0_1v@rel32@lo+4
	s_addc_u32 s1, s1, _Z47ncclDevFunc_ReduceScatter_RING_LL_Sum_u64_0_0_1v@rel32@hi+12
	s_mov_b64 s[4:5], s[48:49]
	s_mov_b64 s[6:7], s[38:39]
	;; [unrolled: 1-line block ×3, first 2 shown]
	s_mov_b32 s12, s55
	s_mov_b32 s13, s54
	;; [unrolled: 1-line block ×3, first 2 shown]
	v_mov_b32_e32 v31, v40
	s_swappc_b64 s[30:31], s[0:1]
	s_mov_b64 s[0:1], 0
.LBB0_552:                              ;   in Loop: Header=BB0_82 Depth=1
	s_andn2_b64 vcc, exec, s[0:1]
	s_cbranch_vccnz .LBB0_554
; %bb.553:                              ;   in Loop: Header=BB0_82 Depth=1
	s_add_u32 s8, s36, 0x1000
	s_addc_u32 s9, s37, 0
	s_getpc_b64 s[0:1]
	s_add_u32 s0, s0, _Z47ncclDevFunc_ReduceScatter_RING_LL_Sum_u32_0_0_1v@rel32@lo+4
	s_addc_u32 s1, s1, _Z47ncclDevFunc_ReduceScatter_RING_LL_Sum_u32_0_0_1v@rel32@hi+12
	s_mov_b64 s[4:5], s[48:49]
	s_mov_b64 s[6:7], s[38:39]
	;; [unrolled: 1-line block ×3, first 2 shown]
	s_mov_b32 s12, s55
	s_mov_b32 s13, s54
	;; [unrolled: 1-line block ×3, first 2 shown]
	v_mov_b32_e32 v31, v40
	s_swappc_b64 s[30:31], s[0:1]
.LBB0_554:                              ;   in Loop: Header=BB0_82 Depth=1
	s_mov_b64 s[0:1], 0
.LBB0_555:                              ;   in Loop: Header=BB0_82 Depth=1
	s_andn2_b64 vcc, exec, s[0:1]
	s_cbranch_vccnz .LBB0_557
; %bb.556:                              ;   in Loop: Header=BB0_82 Depth=1
	s_add_u32 s8, s36, 0x1000
	s_addc_u32 s9, s37, 0
	s_getpc_b64 s[0:1]
	s_add_u32 s0, s0, _Z46ncclDevFunc_ReduceScatter_RING_LL_Sum_u8_0_0_1v@rel32@lo+4
	s_addc_u32 s1, s1, _Z46ncclDevFunc_ReduceScatter_RING_LL_Sum_u8_0_0_1v@rel32@hi+12
	s_mov_b64 s[4:5], s[48:49]
	s_mov_b64 s[6:7], s[38:39]
	;; [unrolled: 1-line block ×3, first 2 shown]
	s_mov_b32 s12, s55
	s_mov_b32 s13, s54
	s_mov_b32 s14, s33
	v_mov_b32_e32 v31, v40
	s_swappc_b64 s[30:31], s[0:1]
.LBB0_557:                              ;   in Loop: Header=BB0_82 Depth=1
	s_mov_b64 s[0:1], 0
.LBB0_558:                              ;   in Loop: Header=BB0_82 Depth=1
	s_and_b64 vcc, exec, s[0:1]
	s_cbranch_vccz .LBB0_563
; %bb.559:                              ;   in Loop: Header=BB0_82 Depth=1
	s_cmp_lg_u32 s66, 49
	s_mov_b64 s[0:1], -1
	s_cbranch_scc0 .LBB0_561
; %bb.560:                              ;   in Loop: Header=BB0_82 Depth=1
	s_add_u32 s8, s36, 0x1000
	s_addc_u32 s9, s37, 0
	s_getpc_b64 s[0:1]
	s_add_u32 s0, s0, _Z45ncclDevFunc_AllGather_PAT_SIMPLE_Sum_i8_0_0_1v@rel32@lo+4
	s_addc_u32 s1, s1, _Z45ncclDevFunc_AllGather_PAT_SIMPLE_Sum_i8_0_0_1v@rel32@hi+12
	s_mov_b64 s[4:5], s[48:49]
	s_mov_b64 s[6:7], s[38:39]
	;; [unrolled: 1-line block ×3, first 2 shown]
	s_mov_b32 s12, s55
	s_mov_b32 s13, s54
	;; [unrolled: 1-line block ×3, first 2 shown]
	v_mov_b32_e32 v31, v40
	s_swappc_b64 s[30:31], s[0:1]
	s_mov_b64 s[0:1], 0
.LBB0_561:                              ;   in Loop: Header=BB0_82 Depth=1
	s_andn2_b64 vcc, exec, s[0:1]
	s_cbranch_vccnz .LBB0_563
; %bb.562:                              ;   in Loop: Header=BB0_82 Depth=1
	s_add_u32 s8, s36, 0x1000
	s_addc_u32 s9, s37, 0
	s_getpc_b64 s[0:1]
	s_add_u32 s0, s0, _Z41ncclDevFunc_AllGather_PAT_LL_Sum_i8_0_0_1v@rel32@lo+4
	s_addc_u32 s1, s1, _Z41ncclDevFunc_AllGather_PAT_LL_Sum_i8_0_0_1v@rel32@hi+12
	s_mov_b64 s[4:5], s[48:49]
	s_mov_b64 s[6:7], s[38:39]
	;; [unrolled: 1-line block ×3, first 2 shown]
	s_mov_b32 s12, s55
	s_mov_b32 s13, s54
	;; [unrolled: 1-line block ×3, first 2 shown]
	v_mov_b32_e32 v31, v40
	s_swappc_b64 s[30:31], s[0:1]
.LBB0_563:                              ;   in Loop: Header=BB0_82 Depth=1
	s_mov_b64 s[0:1], 0
.LBB0_564:                              ;   in Loop: Header=BB0_82 Depth=1
	s_andn2_b64 vcc, exec, s[0:1]
	s_cbranch_vccnz .LBB0_576
; %bb.565:                              ;   in Loop: Header=BB0_82 Depth=1
	s_cmp_gt_u32 s66, 45
	s_mov_b64 s[0:1], -1
	s_cbranch_scc0 .LBB0_571
; %bb.566:                              ;   in Loop: Header=BB0_82 Depth=1
	s_cmp_lg_u32 s66, 46
	s_cbranch_scc0 .LBB0_568
; %bb.567:                              ;   in Loop: Header=BB0_82 Depth=1
	s_add_u32 s8, s36, 0x1000
	s_addc_u32 s9, s37, 0
	s_getpc_b64 s[0:1]
	s_add_u32 s0, s0, _Z46ncclDevFunc_AllGather_RING_SIMPLE_Sum_i8_0_0_1v@rel32@lo+4
	s_addc_u32 s1, s1, _Z46ncclDevFunc_AllGather_RING_SIMPLE_Sum_i8_0_0_1v@rel32@hi+12
	s_mov_b64 s[4:5], s[48:49]
	s_mov_b64 s[6:7], s[38:39]
	;; [unrolled: 1-line block ×3, first 2 shown]
	s_mov_b32 s12, s55
	s_mov_b32 s13, s54
	;; [unrolled: 1-line block ×3, first 2 shown]
	v_mov_b32_e32 v31, v40
	s_swappc_b64 s[30:31], s[0:1]
	s_mov_b64 s[0:1], 0
.LBB0_568:                              ;   in Loop: Header=BB0_82 Depth=1
	s_andn2_b64 vcc, exec, s[0:1]
	s_cbranch_vccnz .LBB0_570
; %bb.569:                              ;   in Loop: Header=BB0_82 Depth=1
	s_add_u32 s8, s36, 0x1000
	s_addc_u32 s9, s37, 0
	s_getpc_b64 s[0:1]
	s_add_u32 s0, s0, _Z42ncclDevFunc_AllGather_RING_LL_Sum_i8_0_0_1v@rel32@lo+4
	s_addc_u32 s1, s1, _Z42ncclDevFunc_AllGather_RING_LL_Sum_i8_0_0_1v@rel32@hi+12
	s_mov_b64 s[4:5], s[48:49]
	s_mov_b64 s[6:7], s[38:39]
	;; [unrolled: 1-line block ×3, first 2 shown]
	s_mov_b32 s12, s55
	s_mov_b32 s13, s54
	;; [unrolled: 1-line block ×3, first 2 shown]
	v_mov_b32_e32 v31, v40
	s_swappc_b64 s[30:31], s[0:1]
.LBB0_570:                              ;   in Loop: Header=BB0_82 Depth=1
	s_mov_b64 s[0:1], 0
.LBB0_571:                              ;   in Loop: Header=BB0_82 Depth=1
	s_andn2_b64 vcc, exec, s[0:1]
	s_cbranch_vccnz .LBB0_576
; %bb.572:                              ;   in Loop: Header=BB0_82 Depth=1
	s_cmp_eq_u32 s66, 45
	s_mov_b64 s[0:1], -1
	s_cbranch_scc1 .LBB0_574
; %bb.573:                              ;   in Loop: Header=BB0_82 Depth=1
	s_add_u32 s8, s36, 0x1000
	s_addc_u32 s9, s37, 0
	s_getpc_b64 s[0:1]
	s_add_u32 s0, s0, _Z51ncclDevFunc_Reduce_RING_SIMPLE_SumPostDiv_u32_0_0_1v@rel32@lo+4
	s_addc_u32 s1, s1, _Z51ncclDevFunc_Reduce_RING_SIMPLE_SumPostDiv_u32_0_0_1v@rel32@hi+12
	s_mov_b64 s[4:5], s[48:49]
	s_mov_b64 s[6:7], s[38:39]
	;; [unrolled: 1-line block ×3, first 2 shown]
	s_mov_b32 s12, s55
	s_mov_b32 s13, s54
	;; [unrolled: 1-line block ×3, first 2 shown]
	v_mov_b32_e32 v31, v40
	s_swappc_b64 s[30:31], s[0:1]
	s_mov_b64 s[0:1], 0
.LBB0_574:                              ;   in Loop: Header=BB0_82 Depth=1
	s_andn2_b64 vcc, exec, s[0:1]
	s_cbranch_vccnz .LBB0_576
; %bb.575:                              ;   in Loop: Header=BB0_82 Depth=1
	s_add_u32 s8, s36, 0x1000
	s_addc_u32 s9, s37, 0
	s_getpc_b64 s[0:1]
	s_add_u32 s0, s0, _Z51ncclDevFunc_Reduce_RING_SIMPLE_SumPostDiv_u64_0_0_1v@rel32@lo+4
	s_addc_u32 s1, s1, _Z51ncclDevFunc_Reduce_RING_SIMPLE_SumPostDiv_u64_0_0_1v@rel32@hi+12
	s_mov_b64 s[4:5], s[48:49]
	s_mov_b64 s[6:7], s[38:39]
	;; [unrolled: 1-line block ×3, first 2 shown]
	s_mov_b32 s12, s55
	s_mov_b32 s13, s54
	;; [unrolled: 1-line block ×3, first 2 shown]
	v_mov_b32_e32 v31, v40
	s_swappc_b64 s[30:31], s[0:1]
.LBB0_576:                              ;   in Loop: Header=BB0_82 Depth=1
	s_mov_b64 s[0:1], 0
.LBB0_577:                              ;   in Loop: Header=BB0_82 Depth=1
	s_andn2_b64 vcc, exec, s[0:1]
	s_cbranch_vccnz .LBB0_732
; %bb.578:                              ;   in Loop: Header=BB0_82 Depth=1
	s_cmp_gt_u32 s66, 21
	s_mov_b64 s[0:1], -1
	s_cbranch_scc0 .LBB0_657
; %bb.579:                              ;   in Loop: Header=BB0_82 Depth=1
	s_cmp_gt_u32 s66, 32
	s_cbranch_scc0 .LBB0_618
; %bb.580:                              ;   in Loop: Header=BB0_82 Depth=1
	s_cmp_gt_u32 s66, 37
	;; [unrolled: 3-line block ×3, first 2 shown]
	s_cbranch_scc0 .LBB0_591
; %bb.582:                              ;   in Loop: Header=BB0_82 Depth=1
	s_sext_i32_i16 s0, s80
	s_cmp_lt_i32 s0, 42
	s_mov_b64 s[0:1], -1
	s_cbranch_scc1 .LBB0_588
; %bb.583:                              ;   in Loop: Header=BB0_82 Depth=1
	s_cmp_lg_u32 s66, 42
	s_cbranch_scc0 .LBB0_585
; %bb.584:                              ;   in Loop: Header=BB0_82 Depth=1
	s_add_u32 s8, s36, 0x1000
	s_addc_u32 s9, s37, 0
	s_getpc_b64 s[0:1]
	s_add_u32 s0, s0, _Z50ncclDevFunc_Reduce_RING_SIMPLE_SumPostDiv_u8_0_0_1v@rel32@lo+4
	s_addc_u32 s1, s1, _Z50ncclDevFunc_Reduce_RING_SIMPLE_SumPostDiv_u8_0_0_1v@rel32@hi+12
	s_mov_b64 s[4:5], s[48:49]
	s_mov_b64 s[6:7], s[38:39]
	s_mov_b64 s[10:11], s[34:35]
	s_mov_b32 s12, s55
	s_mov_b32 s13, s54
	;; [unrolled: 1-line block ×3, first 2 shown]
	v_mov_b32_e32 v31, v40
	s_swappc_b64 s[30:31], s[0:1]
	s_mov_b64 s[0:1], 0
.LBB0_585:                              ;   in Loop: Header=BB0_82 Depth=1
	s_andn2_b64 vcc, exec, s[0:1]
	s_cbranch_vccnz .LBB0_587
; %bb.586:                              ;   in Loop: Header=BB0_82 Depth=1
	s_add_u32 s8, s36, 0x1000
	s_addc_u32 s9, s37, 0
	s_getpc_b64 s[0:1]
	s_add_u32 s0, s0, _Z53ncclDevFunc_Reduce_RING_SIMPLE_PreMulSum_f8e5m2_0_0_1v@rel32@lo+4
	s_addc_u32 s1, s1, _Z53ncclDevFunc_Reduce_RING_SIMPLE_PreMulSum_f8e5m2_0_0_1v@rel32@hi+12
	s_mov_b64 s[4:5], s[48:49]
	s_mov_b64 s[6:7], s[38:39]
	;; [unrolled: 1-line block ×3, first 2 shown]
	s_mov_b32 s12, s55
	s_mov_b32 s13, s54
	;; [unrolled: 1-line block ×3, first 2 shown]
	v_mov_b32_e32 v31, v40
	s_swappc_b64 s[30:31], s[0:1]
.LBB0_587:                              ;   in Loop: Header=BB0_82 Depth=1
	s_mov_b64 s[0:1], 0
.LBB0_588:                              ;   in Loop: Header=BB0_82 Depth=1
	s_andn2_b64 vcc, exec, s[0:1]
	s_cbranch_vccnz .LBB0_590
; %bb.589:                              ;   in Loop: Header=BB0_82 Depth=1
	s_add_u32 s8, s36, 0x1000
	s_addc_u32 s9, s37, 0
	s_getpc_b64 s[0:1]
	s_add_u32 s0, s0, _Z53ncclDevFunc_Reduce_RING_SIMPLE_PreMulSum_f8e4m3_0_0_1v@rel32@lo+4
	s_addc_u32 s1, s1, _Z53ncclDevFunc_Reduce_RING_SIMPLE_PreMulSum_f8e4m3_0_0_1v@rel32@hi+12
	s_mov_b64 s[4:5], s[48:49]
	s_mov_b64 s[6:7], s[38:39]
	;; [unrolled: 1-line block ×3, first 2 shown]
	s_mov_b32 s12, s55
	s_mov_b32 s13, s54
	;; [unrolled: 1-line block ×3, first 2 shown]
	v_mov_b32_e32 v31, v40
	s_swappc_b64 s[30:31], s[0:1]
.LBB0_590:                              ;   in Loop: Header=BB0_82 Depth=1
	s_mov_b64 s[0:1], 0
.LBB0_591:                              ;   in Loop: Header=BB0_82 Depth=1
	s_and_b64 vcc, exec, s[0:1]
	s_cbranch_vccz .LBB0_600
; %bb.592:                              ;   in Loop: Header=BB0_82 Depth=1
	s_sext_i32_i16 s0, s80
	s_cmp_lt_i32 s0, 39
	s_mov_b64 s[0:1], -1
	s_cbranch_scc1 .LBB0_598
; %bb.593:                              ;   in Loop: Header=BB0_82 Depth=1
	s_cmp_lg_u32 s66, 39
	s_cbranch_scc0 .LBB0_595
; %bb.594:                              ;   in Loop: Header=BB0_82 Depth=1
	s_add_u32 s8, s36, 0x1000
	s_addc_u32 s9, s37, 0
	s_getpc_b64 s[0:1]
	s_add_u32 s0, s0, _Z51ncclDevFunc_Reduce_RING_SIMPLE_PreMulSum_bf16_0_1_1v@rel32@lo+4
	s_addc_u32 s1, s1, _Z51ncclDevFunc_Reduce_RING_SIMPLE_PreMulSum_bf16_0_1_1v@rel32@hi+12
	s_mov_b64 s[4:5], s[48:49]
	s_mov_b64 s[6:7], s[38:39]
	;; [unrolled: 1-line block ×3, first 2 shown]
	s_mov_b32 s12, s55
	s_mov_b32 s13, s54
	;; [unrolled: 1-line block ×3, first 2 shown]
	v_mov_b32_e32 v31, v40
	s_swappc_b64 s[30:31], s[0:1]
	s_mov_b64 s[0:1], 0
.LBB0_595:                              ;   in Loop: Header=BB0_82 Depth=1
	s_andn2_b64 vcc, exec, s[0:1]
	s_cbranch_vccnz .LBB0_597
; %bb.596:                              ;   in Loop: Header=BB0_82 Depth=1
	s_add_u32 s8, s36, 0x1000
	s_addc_u32 s9, s37, 0
	s_getpc_b64 s[0:1]
	s_add_u32 s0, s0, _Z51ncclDevFunc_Reduce_RING_SIMPLE_PreMulSum_bf16_0_0_1v@rel32@lo+4
	s_addc_u32 s1, s1, _Z51ncclDevFunc_Reduce_RING_SIMPLE_PreMulSum_bf16_0_0_1v@rel32@hi+12
	s_mov_b64 s[4:5], s[48:49]
	s_mov_b64 s[6:7], s[38:39]
	;; [unrolled: 1-line block ×3, first 2 shown]
	s_mov_b32 s12, s55
	s_mov_b32 s13, s54
	;; [unrolled: 1-line block ×3, first 2 shown]
	v_mov_b32_e32 v31, v40
	s_swappc_b64 s[30:31], s[0:1]
.LBB0_597:                              ;   in Loop: Header=BB0_82 Depth=1
	s_mov_b64 s[0:1], 0
.LBB0_598:                              ;   in Loop: Header=BB0_82 Depth=1
	s_andn2_b64 vcc, exec, s[0:1]
	s_cbranch_vccnz .LBB0_600
; %bb.599:                              ;   in Loop: Header=BB0_82 Depth=1
	s_add_u32 s8, s36, 0x1000
	s_addc_u32 s9, s37, 0
	s_getpc_b64 s[0:1]
	s_add_u32 s0, s0, _Z50ncclDevFunc_Reduce_RING_SIMPLE_PreMulSum_f64_0_0_1v@rel32@lo+4
	s_addc_u32 s1, s1, _Z50ncclDevFunc_Reduce_RING_SIMPLE_PreMulSum_f64_0_0_1v@rel32@hi+12
	s_mov_b64 s[4:5], s[48:49]
	s_mov_b64 s[6:7], s[38:39]
	;; [unrolled: 1-line block ×3, first 2 shown]
	s_mov_b32 s12, s55
	s_mov_b32 s13, s54
	;; [unrolled: 1-line block ×3, first 2 shown]
	v_mov_b32_e32 v31, v40
	s_swappc_b64 s[30:31], s[0:1]
.LBB0_600:                              ;   in Loop: Header=BB0_82 Depth=1
	s_mov_b64 s[0:1], 0
.LBB0_601:                              ;   in Loop: Header=BB0_82 Depth=1
	s_andn2_b64 vcc, exec, s[0:1]
	s_cbranch_vccnz .LBB0_617
; %bb.602:                              ;   in Loop: Header=BB0_82 Depth=1
	s_cmp_gt_u32 s66, 34
	s_mov_b64 s[0:1], -1
	s_cbranch_scc0 .LBB0_612
; %bb.603:                              ;   in Loop: Header=BB0_82 Depth=1
	s_sext_i32_i16 s0, s80
	s_cmp_lt_i32 s0, 36
	s_mov_b64 s[0:1], -1
	s_cbranch_scc1 .LBB0_609
; %bb.604:                              ;   in Loop: Header=BB0_82 Depth=1
	s_cmp_lg_u32 s66, 36
	s_cbranch_scc0 .LBB0_606
; %bb.605:                              ;   in Loop: Header=BB0_82 Depth=1
	s_add_u32 s8, s36, 0x1000
	s_addc_u32 s9, s37, 0
	s_getpc_b64 s[0:1]
	s_add_u32 s0, s0, _Z50ncclDevFunc_Reduce_RING_SIMPLE_PreMulSum_f32_0_0_1v@rel32@lo+4
	s_addc_u32 s1, s1, _Z50ncclDevFunc_Reduce_RING_SIMPLE_PreMulSum_f32_0_0_1v@rel32@hi+12
	s_mov_b64 s[4:5], s[48:49]
	s_mov_b64 s[6:7], s[38:39]
	;; [unrolled: 1-line block ×3, first 2 shown]
	s_mov_b32 s12, s55
	s_mov_b32 s13, s54
	;; [unrolled: 1-line block ×3, first 2 shown]
	v_mov_b32_e32 v31, v40
	s_swappc_b64 s[30:31], s[0:1]
	s_mov_b64 s[0:1], 0
.LBB0_606:                              ;   in Loop: Header=BB0_82 Depth=1
	s_andn2_b64 vcc, exec, s[0:1]
	s_cbranch_vccnz .LBB0_608
; %bb.607:                              ;   in Loop: Header=BB0_82 Depth=1
	s_add_u32 s8, s36, 0x1000
	s_addc_u32 s9, s37, 0
	s_getpc_b64 s[0:1]
	s_add_u32 s0, s0, _Z50ncclDevFunc_Reduce_RING_SIMPLE_PreMulSum_f16_0_0_1v@rel32@lo+4
	s_addc_u32 s1, s1, _Z50ncclDevFunc_Reduce_RING_SIMPLE_PreMulSum_f16_0_0_1v@rel32@hi+12
	s_mov_b64 s[4:5], s[48:49]
	s_mov_b64 s[6:7], s[38:39]
	;; [unrolled: 1-line block ×3, first 2 shown]
	s_mov_b32 s12, s55
	s_mov_b32 s13, s54
	;; [unrolled: 1-line block ×3, first 2 shown]
	v_mov_b32_e32 v31, v40
	s_swappc_b64 s[30:31], s[0:1]
.LBB0_608:                              ;   in Loop: Header=BB0_82 Depth=1
	s_mov_b64 s[0:1], 0
.LBB0_609:                              ;   in Loop: Header=BB0_82 Depth=1
	s_andn2_b64 vcc, exec, s[0:1]
	s_cbranch_vccnz .LBB0_611
; %bb.610:                              ;   in Loop: Header=BB0_82 Depth=1
	s_add_u32 s8, s36, 0x1000
	s_addc_u32 s9, s37, 0
	s_getpc_b64 s[0:1]
	s_add_u32 s0, s0, _Z50ncclDevFunc_Reduce_RING_SIMPLE_PreMulSum_u64_0_0_1v@rel32@lo+4
	s_addc_u32 s1, s1, _Z50ncclDevFunc_Reduce_RING_SIMPLE_PreMulSum_u64_0_0_1v@rel32@hi+12
	s_mov_b64 s[4:5], s[48:49]
	s_mov_b64 s[6:7], s[38:39]
	;; [unrolled: 1-line block ×3, first 2 shown]
	s_mov_b32 s12, s55
	s_mov_b32 s13, s54
	;; [unrolled: 1-line block ×3, first 2 shown]
	v_mov_b32_e32 v31, v40
	s_swappc_b64 s[30:31], s[0:1]
.LBB0_611:                              ;   in Loop: Header=BB0_82 Depth=1
	s_mov_b64 s[0:1], 0
.LBB0_612:                              ;   in Loop: Header=BB0_82 Depth=1
	s_and_b64 vcc, exec, s[0:1]
	s_cbranch_vccz .LBB0_617
; %bb.613:                              ;   in Loop: Header=BB0_82 Depth=1
	s_cmp_eq_u32 s66, 34
	s_mov_b64 s[0:1], -1
	s_cbranch_scc1 .LBB0_615
; %bb.614:                              ;   in Loop: Header=BB0_82 Depth=1
	s_add_u32 s8, s36, 0x1000
	s_addc_u32 s9, s37, 0
	s_getpc_b64 s[0:1]
	s_add_u32 s0, s0, _Z49ncclDevFunc_Reduce_RING_SIMPLE_PreMulSum_u8_0_0_1v@rel32@lo+4
	s_addc_u32 s1, s1, _Z49ncclDevFunc_Reduce_RING_SIMPLE_PreMulSum_u8_0_0_1v@rel32@hi+12
	s_mov_b64 s[4:5], s[48:49]
	s_mov_b64 s[6:7], s[38:39]
	;; [unrolled: 1-line block ×3, first 2 shown]
	s_mov_b32 s12, s55
	s_mov_b32 s13, s54
	;; [unrolled: 1-line block ×3, first 2 shown]
	v_mov_b32_e32 v31, v40
	s_swappc_b64 s[30:31], s[0:1]
	s_mov_b64 s[0:1], 0
.LBB0_615:                              ;   in Loop: Header=BB0_82 Depth=1
	s_andn2_b64 vcc, exec, s[0:1]
	s_cbranch_vccnz .LBB0_617
; %bb.616:                              ;   in Loop: Header=BB0_82 Depth=1
	s_add_u32 s8, s36, 0x1000
	s_addc_u32 s9, s37, 0
	s_getpc_b64 s[0:1]
	s_add_u32 s0, s0, _Z50ncclDevFunc_Reduce_RING_SIMPLE_PreMulSum_u32_0_0_1v@rel32@lo+4
	s_addc_u32 s1, s1, _Z50ncclDevFunc_Reduce_RING_SIMPLE_PreMulSum_u32_0_0_1v@rel32@hi+12
	s_mov_b64 s[4:5], s[48:49]
	s_mov_b64 s[6:7], s[38:39]
	;; [unrolled: 1-line block ×3, first 2 shown]
	s_mov_b32 s12, s55
	s_mov_b32 s13, s54
	;; [unrolled: 1-line block ×3, first 2 shown]
	v_mov_b32_e32 v31, v40
	s_swappc_b64 s[30:31], s[0:1]
.LBB0_617:                              ;   in Loop: Header=BB0_82 Depth=1
	s_mov_b64 s[0:1], 0
.LBB0_618:                              ;   in Loop: Header=BB0_82 Depth=1
	s_andn2_b64 vcc, exec, s[0:1]
	s_cbranch_vccnz .LBB0_656
; %bb.619:                              ;   in Loop: Header=BB0_82 Depth=1
	s_cmp_gt_u32 s66, 26
	s_mov_b64 s[0:1], -1
	s_cbranch_scc0 .LBB0_640
; %bb.620:                              ;   in Loop: Header=BB0_82 Depth=1
	s_cmp_gt_u32 s66, 29
	s_cbranch_scc0 .LBB0_630
; %bb.621:                              ;   in Loop: Header=BB0_82 Depth=1
	s_sext_i32_i16 s0, s80
	s_cmp_lt_i32 s0, 31
	s_mov_b64 s[0:1], -1
	s_cbranch_scc1 .LBB0_627
; %bb.622:                              ;   in Loop: Header=BB0_82 Depth=1
	s_cmp_lg_u32 s66, 31
	s_cbranch_scc0 .LBB0_624
; %bb.623:                              ;   in Loop: Header=BB0_82 Depth=1
	s_add_u32 s8, s36, 0x1000
	s_addc_u32 s9, s37, 0
	s_getpc_b64 s[0:1]
	s_add_u32 s0, s0, _Z50ncclDevFunc_Reduce_RING_SIMPLE_MinMax_f8e5m2_0_0_1v@rel32@lo+4
	s_addc_u32 s1, s1, _Z50ncclDevFunc_Reduce_RING_SIMPLE_MinMax_f8e5m2_0_0_1v@rel32@hi+12
	s_mov_b64 s[4:5], s[48:49]
	s_mov_b64 s[6:7], s[38:39]
	;; [unrolled: 1-line block ×3, first 2 shown]
	s_mov_b32 s12, s55
	s_mov_b32 s13, s54
	;; [unrolled: 1-line block ×3, first 2 shown]
	v_mov_b32_e32 v31, v40
	s_swappc_b64 s[30:31], s[0:1]
	s_mov_b64 s[0:1], 0
.LBB0_624:                              ;   in Loop: Header=BB0_82 Depth=1
	s_andn2_b64 vcc, exec, s[0:1]
	s_cbranch_vccnz .LBB0_626
; %bb.625:                              ;   in Loop: Header=BB0_82 Depth=1
	s_add_u32 s8, s36, 0x1000
	s_addc_u32 s9, s37, 0
	s_getpc_b64 s[0:1]
	s_add_u32 s0, s0, _Z50ncclDevFunc_Reduce_RING_SIMPLE_MinMax_f8e4m3_0_0_1v@rel32@lo+4
	s_addc_u32 s1, s1, _Z50ncclDevFunc_Reduce_RING_SIMPLE_MinMax_f8e4m3_0_0_1v@rel32@hi+12
	s_mov_b64 s[4:5], s[48:49]
	s_mov_b64 s[6:7], s[38:39]
	;; [unrolled: 1-line block ×3, first 2 shown]
	s_mov_b32 s12, s55
	s_mov_b32 s13, s54
	;; [unrolled: 1-line block ×3, first 2 shown]
	v_mov_b32_e32 v31, v40
	s_swappc_b64 s[30:31], s[0:1]
.LBB0_626:                              ;   in Loop: Header=BB0_82 Depth=1
	s_mov_b64 s[0:1], 0
.LBB0_627:                              ;   in Loop: Header=BB0_82 Depth=1
	s_andn2_b64 vcc, exec, s[0:1]
	s_cbranch_vccnz .LBB0_629
; %bb.628:                              ;   in Loop: Header=BB0_82 Depth=1
	s_add_u32 s8, s36, 0x1000
	s_addc_u32 s9, s37, 0
	s_getpc_b64 s[0:1]
	s_add_u32 s0, s0, _Z48ncclDevFunc_Reduce_RING_SIMPLE_MinMax_bf16_0_1_1v@rel32@lo+4
	s_addc_u32 s1, s1, _Z48ncclDevFunc_Reduce_RING_SIMPLE_MinMax_bf16_0_1_1v@rel32@hi+12
	s_mov_b64 s[4:5], s[48:49]
	s_mov_b64 s[6:7], s[38:39]
	;; [unrolled: 1-line block ×3, first 2 shown]
	s_mov_b32 s12, s55
	s_mov_b32 s13, s54
	s_mov_b32 s14, s33
	v_mov_b32_e32 v31, v40
	s_swappc_b64 s[30:31], s[0:1]
.LBB0_629:                              ;   in Loop: Header=BB0_82 Depth=1
	s_mov_b64 s[0:1], 0
.LBB0_630:                              ;   in Loop: Header=BB0_82 Depth=1
	s_and_b64 vcc, exec, s[0:1]
	s_cbranch_vccz .LBB0_639
; %bb.631:                              ;   in Loop: Header=BB0_82 Depth=1
	s_sext_i32_i16 s0, s80
	s_cmp_lt_i32 s0, 28
	s_mov_b64 s[0:1], -1
	s_cbranch_scc1 .LBB0_637
; %bb.632:                              ;   in Loop: Header=BB0_82 Depth=1
	s_cmp_lg_u32 s66, 28
	s_cbranch_scc0 .LBB0_634
; %bb.633:                              ;   in Loop: Header=BB0_82 Depth=1
	s_add_u32 s8, s36, 0x1000
	s_addc_u32 s9, s37, 0
	s_getpc_b64 s[0:1]
	s_add_u32 s0, s0, _Z48ncclDevFunc_Reduce_RING_SIMPLE_MinMax_bf16_0_0_1v@rel32@lo+4
	s_addc_u32 s1, s1, _Z48ncclDevFunc_Reduce_RING_SIMPLE_MinMax_bf16_0_0_1v@rel32@hi+12
	s_mov_b64 s[4:5], s[48:49]
	s_mov_b64 s[6:7], s[38:39]
	;; [unrolled: 1-line block ×3, first 2 shown]
	s_mov_b32 s12, s55
	s_mov_b32 s13, s54
	;; [unrolled: 1-line block ×3, first 2 shown]
	v_mov_b32_e32 v31, v40
	s_swappc_b64 s[30:31], s[0:1]
	s_mov_b64 s[0:1], 0
.LBB0_634:                              ;   in Loop: Header=BB0_82 Depth=1
	s_andn2_b64 vcc, exec, s[0:1]
	s_cbranch_vccnz .LBB0_636
; %bb.635:                              ;   in Loop: Header=BB0_82 Depth=1
	s_add_u32 s8, s36, 0x1000
	s_addc_u32 s9, s37, 0
	s_getpc_b64 s[0:1]
	s_add_u32 s0, s0, _Z47ncclDevFunc_Reduce_RING_SIMPLE_MinMax_f64_0_0_1v@rel32@lo+4
	s_addc_u32 s1, s1, _Z47ncclDevFunc_Reduce_RING_SIMPLE_MinMax_f64_0_0_1v@rel32@hi+12
	s_mov_b64 s[4:5], s[48:49]
	s_mov_b64 s[6:7], s[38:39]
	;; [unrolled: 1-line block ×3, first 2 shown]
	s_mov_b32 s12, s55
	s_mov_b32 s13, s54
	;; [unrolled: 1-line block ×3, first 2 shown]
	v_mov_b32_e32 v31, v40
	s_swappc_b64 s[30:31], s[0:1]
.LBB0_636:                              ;   in Loop: Header=BB0_82 Depth=1
	s_mov_b64 s[0:1], 0
.LBB0_637:                              ;   in Loop: Header=BB0_82 Depth=1
	s_andn2_b64 vcc, exec, s[0:1]
	s_cbranch_vccnz .LBB0_639
; %bb.638:                              ;   in Loop: Header=BB0_82 Depth=1
	s_add_u32 s8, s36, 0x1000
	s_addc_u32 s9, s37, 0
	s_getpc_b64 s[0:1]
	s_add_u32 s0, s0, _Z47ncclDevFunc_Reduce_RING_SIMPLE_MinMax_f32_0_0_1v@rel32@lo+4
	s_addc_u32 s1, s1, _Z47ncclDevFunc_Reduce_RING_SIMPLE_MinMax_f32_0_0_1v@rel32@hi+12
	s_mov_b64 s[4:5], s[48:49]
	s_mov_b64 s[6:7], s[38:39]
	;; [unrolled: 1-line block ×3, first 2 shown]
	s_mov_b32 s12, s55
	s_mov_b32 s13, s54
	;; [unrolled: 1-line block ×3, first 2 shown]
	v_mov_b32_e32 v31, v40
	s_swappc_b64 s[30:31], s[0:1]
.LBB0_639:                              ;   in Loop: Header=BB0_82 Depth=1
	s_mov_b64 s[0:1], 0
.LBB0_640:                              ;   in Loop: Header=BB0_82 Depth=1
	s_andn2_b64 vcc, exec, s[0:1]
	s_cbranch_vccnz .LBB0_656
; %bb.641:                              ;   in Loop: Header=BB0_82 Depth=1
	s_cmp_gt_u32 s66, 23
	s_mov_b64 s[0:1], -1
	s_cbranch_scc0 .LBB0_651
; %bb.642:                              ;   in Loop: Header=BB0_82 Depth=1
	s_sext_i32_i16 s0, s80
	s_cmp_lt_i32 s0, 25
	s_mov_b64 s[0:1], -1
	s_cbranch_scc1 .LBB0_648
; %bb.643:                              ;   in Loop: Header=BB0_82 Depth=1
	s_cmp_lg_u32 s66, 25
	s_cbranch_scc0 .LBB0_645
; %bb.644:                              ;   in Loop: Header=BB0_82 Depth=1
	s_add_u32 s8, s36, 0x1000
	s_addc_u32 s9, s37, 0
	s_getpc_b64 s[0:1]
	s_add_u32 s0, s0, _Z47ncclDevFunc_Reduce_RING_SIMPLE_MinMax_f16_0_0_1v@rel32@lo+4
	s_addc_u32 s1, s1, _Z47ncclDevFunc_Reduce_RING_SIMPLE_MinMax_f16_0_0_1v@rel32@hi+12
	s_mov_b64 s[4:5], s[48:49]
	s_mov_b64 s[6:7], s[38:39]
	;; [unrolled: 1-line block ×3, first 2 shown]
	s_mov_b32 s12, s55
	s_mov_b32 s13, s54
	;; [unrolled: 1-line block ×3, first 2 shown]
	v_mov_b32_e32 v31, v40
	s_swappc_b64 s[30:31], s[0:1]
	s_mov_b64 s[0:1], 0
.LBB0_645:                              ;   in Loop: Header=BB0_82 Depth=1
	s_andn2_b64 vcc, exec, s[0:1]
	s_cbranch_vccnz .LBB0_647
; %bb.646:                              ;   in Loop: Header=BB0_82 Depth=1
	s_add_u32 s8, s36, 0x1000
	s_addc_u32 s9, s37, 0
	s_getpc_b64 s[0:1]
	s_add_u32 s0, s0, _Z47ncclDevFunc_Reduce_RING_SIMPLE_MinMax_u64_0_0_1v@rel32@lo+4
	s_addc_u32 s1, s1, _Z47ncclDevFunc_Reduce_RING_SIMPLE_MinMax_u64_0_0_1v@rel32@hi+12
	s_mov_b64 s[4:5], s[48:49]
	s_mov_b64 s[6:7], s[38:39]
	;; [unrolled: 1-line block ×3, first 2 shown]
	s_mov_b32 s12, s55
	s_mov_b32 s13, s54
	;; [unrolled: 1-line block ×3, first 2 shown]
	v_mov_b32_e32 v31, v40
	s_swappc_b64 s[30:31], s[0:1]
.LBB0_647:                              ;   in Loop: Header=BB0_82 Depth=1
	s_mov_b64 s[0:1], 0
.LBB0_648:                              ;   in Loop: Header=BB0_82 Depth=1
	s_andn2_b64 vcc, exec, s[0:1]
	s_cbranch_vccnz .LBB0_650
; %bb.649:                              ;   in Loop: Header=BB0_82 Depth=1
	s_add_u32 s8, s36, 0x1000
	s_addc_u32 s9, s37, 0
	s_getpc_b64 s[0:1]
	s_add_u32 s0, s0, _Z47ncclDevFunc_Reduce_RING_SIMPLE_MinMax_u32_0_0_1v@rel32@lo+4
	s_addc_u32 s1, s1, _Z47ncclDevFunc_Reduce_RING_SIMPLE_MinMax_u32_0_0_1v@rel32@hi+12
	s_mov_b64 s[4:5], s[48:49]
	s_mov_b64 s[6:7], s[38:39]
	;; [unrolled: 1-line block ×3, first 2 shown]
	s_mov_b32 s12, s55
	s_mov_b32 s13, s54
	;; [unrolled: 1-line block ×3, first 2 shown]
	v_mov_b32_e32 v31, v40
	s_swappc_b64 s[30:31], s[0:1]
.LBB0_650:                              ;   in Loop: Header=BB0_82 Depth=1
	s_mov_b64 s[0:1], 0
.LBB0_651:                              ;   in Loop: Header=BB0_82 Depth=1
	s_and_b64 vcc, exec, s[0:1]
	s_cbranch_vccz .LBB0_656
; %bb.652:                              ;   in Loop: Header=BB0_82 Depth=1
	s_cmp_eq_u32 s66, 23
	s_mov_b64 s[0:1], -1
	s_cbranch_scc1 .LBB0_654
; %bb.653:                              ;   in Loop: Header=BB0_82 Depth=1
	s_add_u32 s8, s36, 0x1000
	s_addc_u32 s9, s37, 0
	s_getpc_b64 s[0:1]
	s_add_u32 s0, s0, _Z48ncclDevFunc_Reduce_RING_SIMPLE_Prod_f8e5m2_0_0_1v@rel32@lo+4
	s_addc_u32 s1, s1, _Z48ncclDevFunc_Reduce_RING_SIMPLE_Prod_f8e5m2_0_0_1v@rel32@hi+12
	s_mov_b64 s[4:5], s[48:49]
	s_mov_b64 s[6:7], s[38:39]
	;; [unrolled: 1-line block ×3, first 2 shown]
	s_mov_b32 s12, s55
	s_mov_b32 s13, s54
	;; [unrolled: 1-line block ×3, first 2 shown]
	v_mov_b32_e32 v31, v40
	s_swappc_b64 s[30:31], s[0:1]
	s_mov_b64 s[0:1], 0
.LBB0_654:                              ;   in Loop: Header=BB0_82 Depth=1
	s_andn2_b64 vcc, exec, s[0:1]
	s_cbranch_vccnz .LBB0_656
; %bb.655:                              ;   in Loop: Header=BB0_82 Depth=1
	s_add_u32 s8, s36, 0x1000
	s_addc_u32 s9, s37, 0
	s_getpc_b64 s[0:1]
	s_add_u32 s0, s0, _Z46ncclDevFunc_Reduce_RING_SIMPLE_MinMax_u8_0_0_1v@rel32@lo+4
	s_addc_u32 s1, s1, _Z46ncclDevFunc_Reduce_RING_SIMPLE_MinMax_u8_0_0_1v@rel32@hi+12
	s_mov_b64 s[4:5], s[48:49]
	s_mov_b64 s[6:7], s[38:39]
	;; [unrolled: 1-line block ×3, first 2 shown]
	s_mov_b32 s12, s55
	s_mov_b32 s13, s54
	;; [unrolled: 1-line block ×3, first 2 shown]
	v_mov_b32_e32 v31, v40
	s_swappc_b64 s[30:31], s[0:1]
.LBB0_656:                              ;   in Loop: Header=BB0_82 Depth=1
	s_mov_b64 s[0:1], 0
.LBB0_657:                              ;   in Loop: Header=BB0_82 Depth=1
	s_andn2_b64 vcc, exec, s[0:1]
	s_cbranch_vccnz .LBB0_732
; %bb.658:                              ;   in Loop: Header=BB0_82 Depth=1
	s_cmp_gt_u32 s66, 10
	s_mov_b64 s[0:1], -1
	s_cbranch_scc0 .LBB0_697
; %bb.659:                              ;   in Loop: Header=BB0_82 Depth=1
	s_cmp_gt_u32 s66, 15
	s_cbranch_scc0 .LBB0_680
; %bb.660:                              ;   in Loop: Header=BB0_82 Depth=1
	s_cmp_gt_u32 s66, 18
	s_cbranch_scc0 .LBB0_670
; %bb.661:                              ;   in Loop: Header=BB0_82 Depth=1
	s_sext_i32_i16 s0, s80
	s_cmp_lt_i32 s0, 20
	s_mov_b64 s[0:1], -1
	s_cbranch_scc1 .LBB0_667
; %bb.662:                              ;   in Loop: Header=BB0_82 Depth=1
	s_cmp_lg_u32 s66, 20
	s_cbranch_scc0 .LBB0_664
; %bb.663:                              ;   in Loop: Header=BB0_82 Depth=1
	s_add_u32 s8, s36, 0x1000
	s_addc_u32 s9, s37, 0
	s_getpc_b64 s[0:1]
	s_add_u32 s0, s0, _Z48ncclDevFunc_Reduce_RING_SIMPLE_Prod_f8e4m3_0_0_1v@rel32@lo+4
	s_addc_u32 s1, s1, _Z48ncclDevFunc_Reduce_RING_SIMPLE_Prod_f8e4m3_0_0_1v@rel32@hi+12
	s_mov_b64 s[4:5], s[48:49]
	s_mov_b64 s[6:7], s[38:39]
	;; [unrolled: 1-line block ×3, first 2 shown]
	s_mov_b32 s12, s55
	s_mov_b32 s13, s54
	;; [unrolled: 1-line block ×3, first 2 shown]
	v_mov_b32_e32 v31, v40
	s_swappc_b64 s[30:31], s[0:1]
	s_mov_b64 s[0:1], 0
.LBB0_664:                              ;   in Loop: Header=BB0_82 Depth=1
	s_andn2_b64 vcc, exec, s[0:1]
	s_cbranch_vccnz .LBB0_666
; %bb.665:                              ;   in Loop: Header=BB0_82 Depth=1
	s_add_u32 s8, s36, 0x1000
	s_addc_u32 s9, s37, 0
	s_getpc_b64 s[0:1]
	s_add_u32 s0, s0, _Z46ncclDevFunc_Reduce_RING_SIMPLE_Prod_bf16_0_1_1v@rel32@lo+4
	s_addc_u32 s1, s1, _Z46ncclDevFunc_Reduce_RING_SIMPLE_Prod_bf16_0_1_1v@rel32@hi+12
	s_mov_b64 s[4:5], s[48:49]
	s_mov_b64 s[6:7], s[38:39]
	;; [unrolled: 1-line block ×3, first 2 shown]
	s_mov_b32 s12, s55
	s_mov_b32 s13, s54
	;; [unrolled: 1-line block ×3, first 2 shown]
	v_mov_b32_e32 v31, v40
	s_swappc_b64 s[30:31], s[0:1]
.LBB0_666:                              ;   in Loop: Header=BB0_82 Depth=1
	s_mov_b64 s[0:1], 0
.LBB0_667:                              ;   in Loop: Header=BB0_82 Depth=1
	s_andn2_b64 vcc, exec, s[0:1]
	s_cbranch_vccnz .LBB0_669
; %bb.668:                              ;   in Loop: Header=BB0_82 Depth=1
	s_add_u32 s8, s36, 0x1000
	s_addc_u32 s9, s37, 0
	s_getpc_b64 s[0:1]
	s_add_u32 s0, s0, _Z46ncclDevFunc_Reduce_RING_SIMPLE_Prod_bf16_0_0_1v@rel32@lo+4
	s_addc_u32 s1, s1, _Z46ncclDevFunc_Reduce_RING_SIMPLE_Prod_bf16_0_0_1v@rel32@hi+12
	s_mov_b64 s[4:5], s[48:49]
	s_mov_b64 s[6:7], s[38:39]
	;; [unrolled: 1-line block ×3, first 2 shown]
	s_mov_b32 s12, s55
	s_mov_b32 s13, s54
	;; [unrolled: 1-line block ×3, first 2 shown]
	v_mov_b32_e32 v31, v40
	s_swappc_b64 s[30:31], s[0:1]
.LBB0_669:                              ;   in Loop: Header=BB0_82 Depth=1
	s_mov_b64 s[0:1], 0
.LBB0_670:                              ;   in Loop: Header=BB0_82 Depth=1
	s_and_b64 vcc, exec, s[0:1]
	s_cbranch_vccz .LBB0_679
; %bb.671:                              ;   in Loop: Header=BB0_82 Depth=1
	s_sext_i32_i16 s0, s80
	s_cmp_lt_i32 s0, 17
	s_mov_b64 s[0:1], -1
	s_cbranch_scc1 .LBB0_677
; %bb.672:                              ;   in Loop: Header=BB0_82 Depth=1
	s_cmp_lg_u32 s66, 17
	s_cbranch_scc0 .LBB0_674
; %bb.673:                              ;   in Loop: Header=BB0_82 Depth=1
	s_add_u32 s8, s36, 0x1000
	s_addc_u32 s9, s37, 0
	s_getpc_b64 s[0:1]
	s_add_u32 s0, s0, _Z45ncclDevFunc_Reduce_RING_SIMPLE_Prod_f64_0_0_1v@rel32@lo+4
	s_addc_u32 s1, s1, _Z45ncclDevFunc_Reduce_RING_SIMPLE_Prod_f64_0_0_1v@rel32@hi+12
	s_mov_b64 s[4:5], s[48:49]
	s_mov_b64 s[6:7], s[38:39]
	;; [unrolled: 1-line block ×3, first 2 shown]
	s_mov_b32 s12, s55
	s_mov_b32 s13, s54
	;; [unrolled: 1-line block ×3, first 2 shown]
	v_mov_b32_e32 v31, v40
	s_swappc_b64 s[30:31], s[0:1]
	s_mov_b64 s[0:1], 0
.LBB0_674:                              ;   in Loop: Header=BB0_82 Depth=1
	s_andn2_b64 vcc, exec, s[0:1]
	s_cbranch_vccnz .LBB0_676
; %bb.675:                              ;   in Loop: Header=BB0_82 Depth=1
	s_add_u32 s8, s36, 0x1000
	s_addc_u32 s9, s37, 0
	s_getpc_b64 s[0:1]
	s_add_u32 s0, s0, _Z45ncclDevFunc_Reduce_RING_SIMPLE_Prod_f32_0_0_1v@rel32@lo+4
	s_addc_u32 s1, s1, _Z45ncclDevFunc_Reduce_RING_SIMPLE_Prod_f32_0_0_1v@rel32@hi+12
	s_mov_b64 s[4:5], s[48:49]
	s_mov_b64 s[6:7], s[38:39]
	;; [unrolled: 1-line block ×3, first 2 shown]
	s_mov_b32 s12, s55
	s_mov_b32 s13, s54
	;; [unrolled: 1-line block ×3, first 2 shown]
	v_mov_b32_e32 v31, v40
	s_swappc_b64 s[30:31], s[0:1]
.LBB0_676:                              ;   in Loop: Header=BB0_82 Depth=1
	s_mov_b64 s[0:1], 0
.LBB0_677:                              ;   in Loop: Header=BB0_82 Depth=1
	s_andn2_b64 vcc, exec, s[0:1]
	s_cbranch_vccnz .LBB0_679
; %bb.678:                              ;   in Loop: Header=BB0_82 Depth=1
	s_add_u32 s8, s36, 0x1000
	s_addc_u32 s9, s37, 0
	s_getpc_b64 s[0:1]
	s_add_u32 s0, s0, _Z45ncclDevFunc_Reduce_RING_SIMPLE_Prod_f16_0_0_1v@rel32@lo+4
	s_addc_u32 s1, s1, _Z45ncclDevFunc_Reduce_RING_SIMPLE_Prod_f16_0_0_1v@rel32@hi+12
	s_mov_b64 s[4:5], s[48:49]
	s_mov_b64 s[6:7], s[38:39]
	s_mov_b64 s[10:11], s[34:35]
	s_mov_b32 s12, s55
	s_mov_b32 s13, s54
	;; [unrolled: 1-line block ×3, first 2 shown]
	v_mov_b32_e32 v31, v40
	s_swappc_b64 s[30:31], s[0:1]
.LBB0_679:                              ;   in Loop: Header=BB0_82 Depth=1
	s_mov_b64 s[0:1], 0
.LBB0_680:                              ;   in Loop: Header=BB0_82 Depth=1
	s_andn2_b64 vcc, exec, s[0:1]
	s_cbranch_vccnz .LBB0_696
; %bb.681:                              ;   in Loop: Header=BB0_82 Depth=1
	s_cmp_gt_u32 s66, 12
	s_mov_b64 s[0:1], -1
	s_cbranch_scc0 .LBB0_691
; %bb.682:                              ;   in Loop: Header=BB0_82 Depth=1
	s_sext_i32_i16 s0, s80
	s_cmp_lt_i32 s0, 14
	s_mov_b64 s[0:1], -1
	s_cbranch_scc1 .LBB0_688
; %bb.683:                              ;   in Loop: Header=BB0_82 Depth=1
	s_cmp_lg_u32 s66, 14
	s_cbranch_scc0 .LBB0_685
; %bb.684:                              ;   in Loop: Header=BB0_82 Depth=1
	s_add_u32 s8, s36, 0x1000
	s_addc_u32 s9, s37, 0
	s_getpc_b64 s[0:1]
	s_add_u32 s0, s0, _Z45ncclDevFunc_Reduce_RING_SIMPLE_Prod_u64_0_0_1v@rel32@lo+4
	s_addc_u32 s1, s1, _Z45ncclDevFunc_Reduce_RING_SIMPLE_Prod_u64_0_0_1v@rel32@hi+12
	s_mov_b64 s[4:5], s[48:49]
	s_mov_b64 s[6:7], s[38:39]
	;; [unrolled: 1-line block ×3, first 2 shown]
	s_mov_b32 s12, s55
	s_mov_b32 s13, s54
	;; [unrolled: 1-line block ×3, first 2 shown]
	v_mov_b32_e32 v31, v40
	s_swappc_b64 s[30:31], s[0:1]
	s_mov_b64 s[0:1], 0
.LBB0_685:                              ;   in Loop: Header=BB0_82 Depth=1
	s_andn2_b64 vcc, exec, s[0:1]
	s_cbranch_vccnz .LBB0_687
; %bb.686:                              ;   in Loop: Header=BB0_82 Depth=1
	s_add_u32 s8, s36, 0x1000
	s_addc_u32 s9, s37, 0
	s_getpc_b64 s[0:1]
	s_add_u32 s0, s0, _Z45ncclDevFunc_Reduce_RING_SIMPLE_Prod_u32_0_0_1v@rel32@lo+4
	s_addc_u32 s1, s1, _Z45ncclDevFunc_Reduce_RING_SIMPLE_Prod_u32_0_0_1v@rel32@hi+12
	s_mov_b64 s[4:5], s[48:49]
	s_mov_b64 s[6:7], s[38:39]
	s_mov_b64 s[10:11], s[34:35]
	s_mov_b32 s12, s55
	s_mov_b32 s13, s54
	;; [unrolled: 1-line block ×3, first 2 shown]
	v_mov_b32_e32 v31, v40
	s_swappc_b64 s[30:31], s[0:1]
.LBB0_687:                              ;   in Loop: Header=BB0_82 Depth=1
	s_mov_b64 s[0:1], 0
.LBB0_688:                              ;   in Loop: Header=BB0_82 Depth=1
	s_andn2_b64 vcc, exec, s[0:1]
	s_cbranch_vccnz .LBB0_690
; %bb.689:                              ;   in Loop: Header=BB0_82 Depth=1
	s_add_u32 s8, s36, 0x1000
	s_addc_u32 s9, s37, 0
	s_getpc_b64 s[0:1]
	s_add_u32 s0, s0, _Z44ncclDevFunc_Reduce_RING_SIMPLE_Prod_u8_0_0_1v@rel32@lo+4
	s_addc_u32 s1, s1, _Z44ncclDevFunc_Reduce_RING_SIMPLE_Prod_u8_0_0_1v@rel32@hi+12
	s_mov_b64 s[4:5], s[48:49]
	s_mov_b64 s[6:7], s[38:39]
	s_mov_b64 s[10:11], s[34:35]
	s_mov_b32 s12, s55
	s_mov_b32 s13, s54
	;; [unrolled: 1-line block ×3, first 2 shown]
	v_mov_b32_e32 v31, v40
	s_swappc_b64 s[30:31], s[0:1]
.LBB0_690:                              ;   in Loop: Header=BB0_82 Depth=1
	s_mov_b64 s[0:1], 0
.LBB0_691:                              ;   in Loop: Header=BB0_82 Depth=1
	s_and_b64 vcc, exec, s[0:1]
	s_cbranch_vccz .LBB0_696
; %bb.692:                              ;   in Loop: Header=BB0_82 Depth=1
	s_cmp_eq_u32 s66, 12
	s_mov_b64 s[0:1], -1
	s_cbranch_scc1 .LBB0_694
; %bb.693:                              ;   in Loop: Header=BB0_82 Depth=1
	s_add_u32 s8, s36, 0x1000
	s_addc_u32 s9, s37, 0
	s_getpc_b64 s[0:1]
	s_add_u32 s0, s0, _Z47ncclDevFunc_Reduce_RING_SIMPLE_Sum_f8e4m3_0_0_1v@rel32@lo+4
	s_addc_u32 s1, s1, _Z47ncclDevFunc_Reduce_RING_SIMPLE_Sum_f8e4m3_0_0_1v@rel32@hi+12
	s_mov_b64 s[4:5], s[48:49]
	s_mov_b64 s[6:7], s[38:39]
	;; [unrolled: 1-line block ×3, first 2 shown]
	s_mov_b32 s12, s55
	s_mov_b32 s13, s54
	;; [unrolled: 1-line block ×3, first 2 shown]
	v_mov_b32_e32 v31, v40
	s_swappc_b64 s[30:31], s[0:1]
	s_mov_b64 s[0:1], 0
.LBB0_694:                              ;   in Loop: Header=BB0_82 Depth=1
	s_andn2_b64 vcc, exec, s[0:1]
	s_cbranch_vccnz .LBB0_696
; %bb.695:                              ;   in Loop: Header=BB0_82 Depth=1
	s_add_u32 s8, s36, 0x1000
	s_addc_u32 s9, s37, 0
	s_getpc_b64 s[0:1]
	s_add_u32 s0, s0, _Z47ncclDevFunc_Reduce_RING_SIMPLE_Sum_f8e5m2_0_0_1v@rel32@lo+4
	s_addc_u32 s1, s1, _Z47ncclDevFunc_Reduce_RING_SIMPLE_Sum_f8e5m2_0_0_1v@rel32@hi+12
	s_mov_b64 s[4:5], s[48:49]
	s_mov_b64 s[6:7], s[38:39]
	;; [unrolled: 1-line block ×3, first 2 shown]
	s_mov_b32 s12, s55
	s_mov_b32 s13, s54
	;; [unrolled: 1-line block ×3, first 2 shown]
	v_mov_b32_e32 v31, v40
	s_swappc_b64 s[30:31], s[0:1]
.LBB0_696:                              ;   in Loop: Header=BB0_82 Depth=1
	s_mov_b64 s[0:1], 0
.LBB0_697:                              ;   in Loop: Header=BB0_82 Depth=1
	s_andn2_b64 vcc, exec, s[0:1]
	s_cbranch_vccnz .LBB0_732
; %bb.698:                              ;   in Loop: Header=BB0_82 Depth=1
	s_cmp_gt_u32 s66, 4
	s_mov_b64 s[0:1], -1
	s_cbranch_scc0 .LBB0_719
; %bb.699:                              ;   in Loop: Header=BB0_82 Depth=1
	s_cmp_gt_u32 s66, 7
	s_cbranch_scc0 .LBB0_709
; %bb.700:                              ;   in Loop: Header=BB0_82 Depth=1
	s_sext_i32_i16 s0, s80
	s_cmp_lt_i32 s0, 9
	s_mov_b64 s[0:1], -1
	s_cbranch_scc1 .LBB0_706
; %bb.701:                              ;   in Loop: Header=BB0_82 Depth=1
	s_cmp_lg_u32 s66, 9
	s_cbranch_scc0 .LBB0_703
; %bb.702:                              ;   in Loop: Header=BB0_82 Depth=1
	s_add_u32 s8, s36, 0x1000
	s_addc_u32 s9, s37, 0
	s_getpc_b64 s[0:1]
	s_add_u32 s0, s0, _Z45ncclDevFunc_Reduce_RING_SIMPLE_Sum_bf16_0_1_1v@rel32@lo+4
	s_addc_u32 s1, s1, _Z45ncclDevFunc_Reduce_RING_SIMPLE_Sum_bf16_0_1_1v@rel32@hi+12
	s_mov_b64 s[4:5], s[48:49]
	s_mov_b64 s[6:7], s[38:39]
	;; [unrolled: 1-line block ×3, first 2 shown]
	s_mov_b32 s12, s55
	s_mov_b32 s13, s54
	;; [unrolled: 1-line block ×3, first 2 shown]
	v_mov_b32_e32 v31, v40
	s_swappc_b64 s[30:31], s[0:1]
	s_mov_b64 s[0:1], 0
.LBB0_703:                              ;   in Loop: Header=BB0_82 Depth=1
	s_andn2_b64 vcc, exec, s[0:1]
	s_cbranch_vccnz .LBB0_705
; %bb.704:                              ;   in Loop: Header=BB0_82 Depth=1
	s_add_u32 s8, s36, 0x1000
	s_addc_u32 s9, s37, 0
	s_getpc_b64 s[0:1]
	s_add_u32 s0, s0, _Z45ncclDevFunc_Reduce_RING_SIMPLE_Sum_bf16_0_0_1v@rel32@lo+4
	s_addc_u32 s1, s1, _Z45ncclDevFunc_Reduce_RING_SIMPLE_Sum_bf16_0_0_1v@rel32@hi+12
	s_mov_b64 s[4:5], s[48:49]
	s_mov_b64 s[6:7], s[38:39]
	;; [unrolled: 1-line block ×3, first 2 shown]
	s_mov_b32 s12, s55
	s_mov_b32 s13, s54
	;; [unrolled: 1-line block ×3, first 2 shown]
	v_mov_b32_e32 v31, v40
	s_swappc_b64 s[30:31], s[0:1]
.LBB0_705:                              ;   in Loop: Header=BB0_82 Depth=1
	s_mov_b64 s[0:1], 0
.LBB0_706:                              ;   in Loop: Header=BB0_82 Depth=1
	s_andn2_b64 vcc, exec, s[0:1]
	s_cbranch_vccnz .LBB0_708
; %bb.707:                              ;   in Loop: Header=BB0_82 Depth=1
	s_add_u32 s8, s36, 0x1000
	s_addc_u32 s9, s37, 0
	s_getpc_b64 s[0:1]
	s_add_u32 s0, s0, _Z44ncclDevFunc_Reduce_RING_SIMPLE_Sum_f64_0_0_1v@rel32@lo+4
	s_addc_u32 s1, s1, _Z44ncclDevFunc_Reduce_RING_SIMPLE_Sum_f64_0_0_1v@rel32@hi+12
	s_mov_b64 s[4:5], s[48:49]
	s_mov_b64 s[6:7], s[38:39]
	;; [unrolled: 1-line block ×3, first 2 shown]
	s_mov_b32 s12, s55
	s_mov_b32 s13, s54
	;; [unrolled: 1-line block ×3, first 2 shown]
	v_mov_b32_e32 v31, v40
	s_swappc_b64 s[30:31], s[0:1]
.LBB0_708:                              ;   in Loop: Header=BB0_82 Depth=1
	s_mov_b64 s[0:1], 0
.LBB0_709:                              ;   in Loop: Header=BB0_82 Depth=1
	s_and_b64 vcc, exec, s[0:1]
	s_cbranch_vccz .LBB0_718
; %bb.710:                              ;   in Loop: Header=BB0_82 Depth=1
	s_sext_i32_i16 s0, s80
	s_cmp_lt_i32 s0, 6
	s_mov_b64 s[0:1], -1
	s_cbranch_scc1 .LBB0_716
; %bb.711:                              ;   in Loop: Header=BB0_82 Depth=1
	s_cmp_lg_u32 s66, 6
	s_cbranch_scc0 .LBB0_713
; %bb.712:                              ;   in Loop: Header=BB0_82 Depth=1
	s_add_u32 s8, s36, 0x1000
	s_addc_u32 s9, s37, 0
	s_getpc_b64 s[0:1]
	s_add_u32 s0, s0, _Z44ncclDevFunc_Reduce_RING_SIMPLE_Sum_f32_0_0_1v@rel32@lo+4
	s_addc_u32 s1, s1, _Z44ncclDevFunc_Reduce_RING_SIMPLE_Sum_f32_0_0_1v@rel32@hi+12
	s_mov_b64 s[4:5], s[48:49]
	s_mov_b64 s[6:7], s[38:39]
	;; [unrolled: 1-line block ×3, first 2 shown]
	s_mov_b32 s12, s55
	s_mov_b32 s13, s54
	;; [unrolled: 1-line block ×3, first 2 shown]
	v_mov_b32_e32 v31, v40
	s_swappc_b64 s[30:31], s[0:1]
	s_mov_b64 s[0:1], 0
.LBB0_713:                              ;   in Loop: Header=BB0_82 Depth=1
	s_andn2_b64 vcc, exec, s[0:1]
	s_cbranch_vccnz .LBB0_715
; %bb.714:                              ;   in Loop: Header=BB0_82 Depth=1
	s_add_u32 s8, s36, 0x1000
	s_addc_u32 s9, s37, 0
	s_getpc_b64 s[0:1]
	s_add_u32 s0, s0, _Z44ncclDevFunc_Reduce_RING_SIMPLE_Sum_f16_0_0_1v@rel32@lo+4
	s_addc_u32 s1, s1, _Z44ncclDevFunc_Reduce_RING_SIMPLE_Sum_f16_0_0_1v@rel32@hi+12
	s_mov_b64 s[4:5], s[48:49]
	s_mov_b64 s[6:7], s[38:39]
	;; [unrolled: 1-line block ×3, first 2 shown]
	s_mov_b32 s12, s55
	s_mov_b32 s13, s54
	;; [unrolled: 1-line block ×3, first 2 shown]
	v_mov_b32_e32 v31, v40
	s_swappc_b64 s[30:31], s[0:1]
.LBB0_715:                              ;   in Loop: Header=BB0_82 Depth=1
	s_mov_b64 s[0:1], 0
.LBB0_716:                              ;   in Loop: Header=BB0_82 Depth=1
	s_andn2_b64 vcc, exec, s[0:1]
	s_cbranch_vccnz .LBB0_718
; %bb.717:                              ;   in Loop: Header=BB0_82 Depth=1
	s_add_u32 s8, s36, 0x1000
	s_addc_u32 s9, s37, 0
	s_getpc_b64 s[0:1]
	s_add_u32 s0, s0, _Z44ncclDevFunc_Reduce_RING_SIMPLE_Sum_u64_0_0_1v@rel32@lo+4
	s_addc_u32 s1, s1, _Z44ncclDevFunc_Reduce_RING_SIMPLE_Sum_u64_0_0_1v@rel32@hi+12
	s_mov_b64 s[4:5], s[48:49]
	s_mov_b64 s[6:7], s[38:39]
	;; [unrolled: 1-line block ×3, first 2 shown]
	s_mov_b32 s12, s55
	s_mov_b32 s13, s54
	;; [unrolled: 1-line block ×3, first 2 shown]
	v_mov_b32_e32 v31, v40
	s_swappc_b64 s[30:31], s[0:1]
.LBB0_718:                              ;   in Loop: Header=BB0_82 Depth=1
	s_mov_b64 s[0:1], 0
.LBB0_719:                              ;   in Loop: Header=BB0_82 Depth=1
	s_andn2_b64 vcc, exec, s[0:1]
	s_cbranch_vccnz .LBB0_732
; %bb.720:                              ;   in Loop: Header=BB0_82 Depth=1
	s_cmp_gt_u32 s66, 1
	s_mov_b64 s[0:1], -1
	s_cbranch_scc0 .LBB0_730
; %bb.721:                              ;   in Loop: Header=BB0_82 Depth=1
	s_sext_i32_i16 s0, s80
	s_cmp_lt_i32 s0, 3
	s_mov_b64 s[0:1], -1
	s_cbranch_scc1 .LBB0_727
; %bb.722:                              ;   in Loop: Header=BB0_82 Depth=1
	s_cmp_lg_u32 s66, 3
	s_cbranch_scc0 .LBB0_724
; %bb.723:                              ;   in Loop: Header=BB0_82 Depth=1
	s_add_u32 s8, s36, 0x1000
	s_addc_u32 s9, s37, 0
	s_getpc_b64 s[0:1]
	s_add_u32 s0, s0, _Z44ncclDevFunc_Reduce_RING_SIMPLE_Sum_u32_0_0_1v@rel32@lo+4
	s_addc_u32 s1, s1, _Z44ncclDevFunc_Reduce_RING_SIMPLE_Sum_u32_0_0_1v@rel32@hi+12
	s_mov_b64 s[4:5], s[48:49]
	s_mov_b64 s[6:7], s[38:39]
	s_mov_b64 s[10:11], s[34:35]
	s_mov_b32 s12, s55
	s_mov_b32 s13, s54
	;; [unrolled: 1-line block ×3, first 2 shown]
	v_mov_b32_e32 v31, v40
	s_swappc_b64 s[30:31], s[0:1]
	s_mov_b64 s[0:1], 0
.LBB0_724:                              ;   in Loop: Header=BB0_82 Depth=1
	s_andn2_b64 vcc, exec, s[0:1]
	s_cbranch_vccnz .LBB0_726
; %bb.725:                              ;   in Loop: Header=BB0_82 Depth=1
	s_add_u32 s8, s36, 0x1000
	s_addc_u32 s9, s37, 0
	s_getpc_b64 s[0:1]
	s_add_u32 s0, s0, _Z43ncclDevFunc_Reduce_RING_SIMPLE_Sum_u8_0_0_1v@rel32@lo+4
	s_addc_u32 s1, s1, _Z43ncclDevFunc_Reduce_RING_SIMPLE_Sum_u8_0_0_1v@rel32@hi+12
	s_mov_b64 s[4:5], s[48:49]
	s_mov_b64 s[6:7], s[38:39]
	;; [unrolled: 1-line block ×3, first 2 shown]
	s_mov_b32 s12, s55
	s_mov_b32 s13, s54
	;; [unrolled: 1-line block ×3, first 2 shown]
	v_mov_b32_e32 v31, v40
	s_swappc_b64 s[30:31], s[0:1]
.LBB0_726:                              ;   in Loop: Header=BB0_82 Depth=1
	s_mov_b64 s[0:1], 0
.LBB0_727:                              ;   in Loop: Header=BB0_82 Depth=1
	s_andn2_b64 vcc, exec, s[0:1]
	s_cbranch_vccnz .LBB0_729
; %bb.728:                              ;   in Loop: Header=BB0_82 Depth=1
	s_add_u32 s8, s36, 0x1000
	s_addc_u32 s9, s37, 0
	s_getpc_b64 s[0:1]
	s_add_u32 s0, s0, _Z46ncclDevFunc_Broadcast_RING_SIMPLE_Sum_i8_0_0_1v@rel32@lo+4
	s_addc_u32 s1, s1, _Z46ncclDevFunc_Broadcast_RING_SIMPLE_Sum_i8_0_0_1v@rel32@hi+12
	s_mov_b64 s[4:5], s[48:49]
	s_mov_b64 s[6:7], s[38:39]
	;; [unrolled: 1-line block ×3, first 2 shown]
	s_mov_b32 s12, s55
	s_mov_b32 s13, s54
	;; [unrolled: 1-line block ×3, first 2 shown]
	v_mov_b32_e32 v31, v40
	s_swappc_b64 s[30:31], s[0:1]
.LBB0_729:                              ;   in Loop: Header=BB0_82 Depth=1
	s_mov_b64 s[0:1], 0
.LBB0_730:                              ;   in Loop: Header=BB0_82 Depth=1
	s_and_b64 vcc, exec, s[0:1]
	s_cbranch_vccz .LBB0_732
; %bb.731:                              ;   in Loop: Header=BB0_82 Depth=1
	s_add_u32 s8, s36, 0x1000
	s_addc_u32 s9, s37, 0
	s_getpc_b64 s[0:1]
	s_add_u32 s0, s0, _Z42ncclDevFunc_Broadcast_RING_LL_Sum_i8_0_0_1v@rel32@lo+4
	s_addc_u32 s1, s1, _Z42ncclDevFunc_Broadcast_RING_LL_Sum_i8_0_0_1v@rel32@hi+12
	s_mov_b64 s[4:5], s[48:49]
	s_mov_b64 s[6:7], s[38:39]
	;; [unrolled: 1-line block ×3, first 2 shown]
	s_mov_b32 s12, s55
	s_mov_b32 s13, s54
	;; [unrolled: 1-line block ×3, first 2 shown]
	v_mov_b32_e32 v31, v40
	s_swappc_b64 s[30:31], s[0:1]
.LBB0_732:                              ;   in Loop: Header=BB0_82 Depth=1
	ds_read_b32 v0, v43 offset:33444
	s_waitcnt lgkmcnt(0)
	v_cmp_eq_u32_e32 vcc, -1, v0
	v_readfirstlane_b32 s8, v0
	s_cbranch_vccnz .LBB0_747
; %bb.733:                              ;   in Loop: Header=BB0_82 Depth=1
	s_barrier
	s_and_saveexec_b64 s[0:1], s[64:65]
	s_cbranch_execz .LBB0_737
; %bb.734:                              ;   in Loop: Header=BB0_82 Depth=1
	s_and_saveexec_b64 s[2:3], s[52:53]
; %bb.735:                              ;   in Loop: Header=BB0_82 Depth=1
	ds_write_b64 v43, v[58:59] offset:37592
; %bb.736:                              ;   in Loop: Header=BB0_82 Depth=1
	s_or_b64 exec, exec, s[2:3]
	ds_write_b64 v41, v[58:59]
.LBB0_737:                              ;   in Loop: Header=BB0_82 Depth=1
	s_or_b64 exec, exec, s[0:1]
	s_and_saveexec_b64 s[0:1], s[50:51]
	s_cbranch_execz .LBB0_749
; %bb.738:                              ;   in Loop: Header=BB0_82 Depth=1
	ds_read_b64 v[2:3], v43 offset:33424
	ds_read_b32 v4, v43 offset:33452
	s_waitcnt lgkmcnt(0)
	v_lshl_add_u64 v[0:1], v[2:3], 0, 1
	v_ashrrev_i32_e32 v5, 31, v4
	v_lshl_add_u64 v[6:7], v[2:3], 0, v[4:5]
	v_cmp_gt_u64_e32 vcc, v[0:1], v[6:7]
	s_cbranch_vccnz .LBB0_748
; %bb.739:                              ;   in Loop: Header=BB0_82 Depth=1
	ds_read_u8 v8, v43 offset:33448
	s_mov_b32 s4, 0x8f0e
	s_mov_b32 s5, 0x8eda
	s_branch .LBB0_741
.LBB0_740:                              ;   in Loop: Header=BB0_741 Depth=2
	s_waitcnt lgkmcnt(0)
	v_ashrrev_i32_e32 v5, 31, v4
	v_lshl_add_u64 v[0:1], v[0:1], 0, 1
	v_lshl_add_u64 v[6:7], v[2:3], 0, v[4:5]
	v_cmp_le_u64_e32 vcc, v[0:1], v[6:7]
	s_add_i32 s4, s4, 64
	s_addk_i32 s5, 0x80
	s_cbranch_vccz .LBB0_748
.LBB0_741:                              ;   Parent Loop BB0_82 Depth=1
                                        ; =>  This Inner Loop Header: Depth=2
	s_waitcnt lgkmcnt(0)
	v_cmp_ne_u32_sdwa s[2:3], v8, v43 src0_sel:BYTE_0 src1_sel:DWORD
	s_and_b64 vcc, exec, s[2:3]
	s_cbranch_vccz .LBB0_746
; %bb.742:                              ;   in Loop: Header=BB0_741 Depth=2
	v_mov_b32_e32 v5, s5
	ds_read_u8 v5, v5
	s_waitcnt lgkmcnt(0)
	v_and_b32_e32 v5, 1, v5
	s_cbranch_execnz .LBB0_744
.LBB0_743:                              ;   in Loop: Header=BB0_741 Depth=2
	v_mov_b32_e32 v5, s4
	ds_read_u16 v5, v5
	s_waitcnt lgkmcnt(0)
	v_bfe_u32 v5, v5, 6, 1
.LBB0_744:                              ;   in Loop: Header=BB0_741 Depth=2
	v_cmp_eq_u32_e32 vcc, 0, v5
	s_cbranch_vccnz .LBB0_740
; %bb.745:                              ;   in Loop: Header=BB0_741 Depth=2
	s_memrealtime s[2:3]
	ds_read_u8 v8, v43 offset:33448
	ds_read_b32 v2, v43 offset:32944
	ds_read_b64 v[4:5], v43 offset:33048
	v_and_b32_e32 v6, 63, v0
	v_lshlrev_b32_e32 v42, 4, v6
	s_waitcnt lgkmcnt(0)
	v_ashrrev_i32_e32 v3, 31, v2
	v_lshlrev_b64 v[2:3], 10, v[2:3]
	v_lshl_add_u64 v[2:3], v[4:5], 0, v[2:3]
	v_lshl_add_u64 v[4:5], v[2:3], 0, v[42:43]
	v_mov_b32_e32 v2, s2
	v_mov_b32_e32 v3, s3
	flat_store_dwordx4 v[4:5], v[0:3]
	ds_read_b64 v[2:3], v43 offset:33424
	ds_read_b32 v4, v43 offset:33452
	s_branch .LBB0_740
.LBB0_746:                              ;   in Loop: Header=BB0_741 Depth=2
                                        ; implicit-def: $vgpr5
	s_branch .LBB0_743
.LBB0_747:                              ;   in Loop: Header=BB0_82 Depth=1
	s_cbranch_execz .LBB0_82
	s_branch .LBB0_68
.LBB0_748:                              ;   in Loop: Header=BB0_82 Depth=1
	ds_write_b64 v43, v[6:7] offset:33424
.LBB0_749:                              ;   in Loop: Header=BB0_82 Depth=1
	s_or_b64 exec, exec, s[0:1]
	s_mov_b32 s12, 0
	v_mov_b32_e32 v1, v56
                                        ; implicit-def: $vgpr8_vgpr9_vgpr10_vgpr11
	s_branch .LBB0_752
.LBB0_750:                              ;   in Loop: Header=BB0_752 Depth=2
	s_or_b64 exec, exec, s[6:7]
	s_mov_b32 s5, s8
	v_mov_b32_e32 v0, v1
.LBB0_751:                              ;   in Loop: Header=BB0_752 Depth=2
	s_andn2_b64 vcc, exec, s[2:3]
	s_mov_b32 s8, s5
	v_mov_b32_e32 v1, v0
	s_cbranch_vccz .LBB0_81
.LBB0_752:                              ;   Parent Loop BB0_82 Depth=1
                                        ; =>  This Inner Loop Header: Depth=2
	s_ashr_i32 s9, s8, 31
	s_lshl_b64 s[0:1], s[8:9], 4
	s_add_u32 s0, s36, s0
	s_addc_u32 s1, s37, s1
	s_load_dwordx4 s[4:7], s[0:1], 0x30
	s_waitcnt lgkmcnt(0)
	v_and_b32_e32 v3, s7, v45
	v_and_b32_e32 v2, s6, v44
	v_cmp_ne_u64_e32 vcc, 0, v[2:3]
	s_and_saveexec_b64 s[0:1], vcc
	s_cbranch_execz .LBB0_754
; %bb.753:                              ;   in Loop: Header=BB0_752 Depth=2
	v_and_b32_e32 v2, s6, v46
	v_and_b32_e32 v0, s7, v47
	v_bcnt_u32_b32 v2, v2, 0
	v_bcnt_u32_b32 v0, v0, v2
	v_add_u32_e32 v0, v57, v0
	ds_write_b8 v0, v56
.LBB0_754:                              ;   in Loop: Header=BB0_752 Depth=2
	s_or_b64 exec, exec, s[0:1]
	s_bcnt1_i32_b64 s13, s[6:7]
	s_bfe_u32 s9, s4, 0x2000f
	s_cmp_lt_i32 s9, 1
	s_mov_b64 s[0:1], -1
                                        ; implicit-def: $vgpr2
                                        ; implicit-def: $vgpr3
                                        ; implicit-def: $vgpr0
                                        ; implicit-def: $vgpr4
	s_cbranch_scc1 .LBB0_762
; %bb.755:                              ;   in Loop: Header=BB0_752 Depth=2
	s_cmp_lg_u32 s9, 1
                                        ; implicit-def: $vgpr2
                                        ; implicit-def: $vgpr3
                                        ; implicit-def: $vgpr0
	s_cbranch_scc0 .LBB0_757
; %bb.756:                              ;   in Loop: Header=BB0_752 Depth=2
	v_mul_hi_i32 v2, v1, s70
	v_lshrrev_b32_e32 v3, 31, v2
	v_ashrrev_i32_e32 v2, 3, v2
	v_add_u32_e32 v2, v2, v3
	v_mul_lo_u32 v3, v2, 20
	v_mul_u32_u24_e64 v0, s13, 20
	v_sub_u32_e32 v3, v1, v3
	s_mov_b64 s[0:1], 0
.LBB0_757:                              ;   in Loop: Header=BB0_752 Depth=2
	s_andn2_b64 vcc, exec, s[0:1]
	s_movk_i32 s2, 0x140
	s_cbranch_vccnz .LBB0_759
; %bb.758:                              ;   in Loop: Header=BB0_752 Depth=2
	v_ashrrev_i32_e32 v0, 31, v1
	v_lshrrev_b32_e32 v0, 29, v0
	v_add_u32_e32 v0, v1, v0
	s_lshl_b32 s0, s13, 3
	v_ashrrev_i32_e32 v2, 3, v0
	v_and_b32_e32 v0, -8, v0
	v_sub_u32_e32 v3, v1, v0
	s_movk_i32 s2, 0x80
	v_mov_b32_e32 v0, s0
.LBB0_759:                              ;   in Loop: Header=BB0_752 Depth=2
	v_mov_b32_e32 v4, s2
	s_cbranch_execz .LBB0_763
.LBB0_760:                              ;   in Loop: Header=BB0_752 Depth=2
	v_cmp_eq_u32_e64 s[0:1], 0, v1
	s_and_saveexec_b64 s[2:3], s[0:1]
	s_cbranch_execz .LBB0_764
.LBB0_761:                              ;   in Loop: Header=BB0_752 Depth=2
	ds_write_b32 v43, v4 offset:33456
	s_or_b64 exec, exec, s[2:3]
	v_cmp_lt_i32_e32 vcc, v1, v0
	s_and_saveexec_b64 s[6:7], vcc
	s_cbranch_execz .LBB0_772
	s_branch .LBB0_765
.LBB0_762:                              ;   in Loop: Header=BB0_752 Depth=2
	s_andn2_b64 vcc, exec, s[0:1]
	s_cbranch_vccnz .LBB0_760
.LBB0_763:                              ;   in Loop: Header=BB0_752 Depth=2
	v_ashrrev_i32_e32 v0, 31, v1
	v_lshrrev_b32_e32 v0, 30, v0
	v_add_u32_e32 v0, v1, v0
	s_lshl_b32 s0, s13, 2
	v_ashrrev_i32_e32 v2, 2, v0
	v_and_b32_e32 v0, -4, v0
	v_sub_u32_e32 v3, v1, v0
	v_mov_b32_e32 v4, 64
	v_mov_b32_e32 v0, s0
	v_cmp_eq_u32_e64 s[0:1], 0, v1
	s_and_saveexec_b64 s[2:3], s[0:1]
	s_cbranch_execnz .LBB0_761
.LBB0_764:                              ;   in Loop: Header=BB0_752 Depth=2
	s_or_b64 exec, exec, s[2:3]
	v_cmp_lt_i32_e32 vcc, v1, v0
	s_and_saveexec_b64 s[6:7], vcc
	s_cbranch_execz .LBB0_772
.LBB0_765:                              ;   in Loop: Header=BB0_752 Depth=2
	ds_read_u8 v0, v43 offset:32920
	v_add_u32_e32 v5, v57, v2
	ds_read_u8 v6, v5
	v_lshlrev_b32_e32 v5, 4, v3
	s_waitcnt lgkmcnt(0)
	v_cmp_ne_u32_e64 s[2:3], 0, v0
	s_and_b64 vcc, exec, s[2:3]
	s_cbranch_vccz .LBB0_768
; %bb.766:                              ;   in Loop: Header=BB0_752 Depth=2
	s_mov_b64 s[10:11], -1
	s_and_b64 vcc, exec, s[2:3]
                                        ; implicit-def: $vgpr12_vgpr13_vgpr14_vgpr15
                                        ; implicit-def: $vgpr0
	s_cbranch_vccz .LBB0_769
.LBB0_767:                              ;   in Loop: Header=BB0_752 Depth=2
	ds_read_b32 v7, v43 offset:32924
	ds_read_b64 v[12:13], v43 offset:32928
	v_mul_u32_u24_e32 v6, v4, v6
	v_lshlrev_b32_e32 v0, 4, v3
	v_add3_u32 v3, v0, s5, v6
	s_waitcnt lgkmcnt(0)
	v_and_b32_e32 v42, v7, v3
	v_lshl_add_u64 v[6:7], v[12:13], 0, v[42:43]
	flat_load_dwordx4 v[12:15], v[6:7]
	s_cbranch_execz .LBB0_770
	s_branch .LBB0_771
.LBB0_768:                              ;   in Loop: Header=BB0_752 Depth=2
	v_mul_u32_u24_e32 v0, v4, v6
	v_lshlrev_b32_e32 v7, 4, v3
	v_add3_u32 v0, v7, s5, v0
	global_load_dwordx4 v[8:11], v0, s[36:37]
	s_mov_b64 s[10:11], -1
	s_and_b64 vcc, exec, s[2:3]
                                        ; implicit-def: $vgpr12_vgpr13_vgpr14_vgpr15
                                        ; implicit-def: $vgpr0
	s_cbranch_vccnz .LBB0_767
.LBB0_769:                              ;   in Loop: Header=BB0_752 Depth=2
	s_andn2_b64 vcc, exec, s[10:11]
	s_cbranch_vccnz .LBB0_771
.LBB0_770:                              ;   in Loop: Header=BB0_752 Depth=2
	s_waitcnt vmcnt(0) lgkmcnt(0)
	v_mov_b64_e32 v[14:15], v[10:11]
	v_mov_b32_e32 v0, v5
	v_mov_b64_e32 v[12:13], v[8:9]
.LBB0_771:                              ;   in Loop: Header=BB0_752 Depth=2
	v_add_u32_e32 v2, s12, v2
	s_waitcnt vmcnt(0) lgkmcnt(0)
	v_mov_b64_e32 v[8:9], v[12:13]
	v_mad_u64_u32 v[2:3], s[2:3], v2, v4, v[0:1]
	v_mov_b64_e32 v[10:11], v[14:15]
	ds_write_b128 v2, v[12:15] offset:36560
.LBB0_772:                              ;   in Loop: Header=BB0_752 Depth=2
	s_or_b64 exec, exec, s[6:7]
	s_bitcmp0_b32 s4, 14
	s_cselect_b64 s[2:3], -1, 0
	s_mov_b64 s[6:7], -1
	s_and_b64 vcc, exec, s[2:3]
	v_readfirstlane_b32 s5, v0
                                        ; implicit-def: $vgpr0
	s_cbranch_vccnz .LBB0_774
; %bb.773:                              ;   in Loop: Header=BB0_752 Depth=2
	v_mov_b32_e32 v0, s68
	v_cmp_gt_i32_e32 vcc, 64, v1
	s_and_b32 s5, s4, 0x3fff
	s_add_i32 s5, s5, s8
	v_cndmask_b32_e32 v0, 0, v0, vcc
	v_add3_u32 v0, v1, v0, s71
	s_add_i32 s12, s12, s13
	s_cbranch_execnz .LBB0_751
	s_branch .LBB0_775
.LBB0_774:                              ;   in Loop: Header=BB0_752 Depth=2
	s_andn2_b64 vcc, exec, s[6:7]
	s_add_i32 s12, s12, s13
	s_cbranch_vccnz .LBB0_751
.LBB0_775:                              ;   in Loop: Header=BB0_752 Depth=2
	s_and_saveexec_b64 s[6:7], s[0:1]
	s_cbranch_execz .LBB0_750
; %bb.776:                              ;   in Loop: Header=BB0_752 Depth=2
	s_and_b32 s0, s4, 0x3fff
	s_add_i32 s1, s0, s8
	s_cmp_lg_u32 s0, 0
	s_cselect_b32 s0, s1, -1
	v_mov_b32_e32 v0, s8
	v_mov_b32_e32 v1, s0
	ds_write_b64 v43, v[0:1] offset:33440
	v_mov_b32_e32 v0, s9
	ds_write_b8 v43, v0 offset:33448
	v_mov_b32_e32 v0, s12
	s_lshr_b32 s0, s4, 17
	ds_write_b32 v43, v0 offset:33452
	v_mov_b32_e32 v0, s0
	v_mov_b32_e32 v1, 0
	ds_write_b16 v43, v0 offset:33450
	s_branch .LBB0_750
	.section	.rodata,"a",@progbits
	.p2align	6, 0x0
	.amdhsa_kernel _Z23ncclDevKernel_Generic_124ncclDevKernelArgsStorageILm4096EE
		.amdhsa_group_segment_fixed_size 37600
		.amdhsa_private_segment_fixed_size 0
		.amdhsa_kernarg_size 4352
		.amdhsa_user_sgpr_count 8
		.amdhsa_user_sgpr_dispatch_ptr 1
		.amdhsa_user_sgpr_queue_ptr 1
		.amdhsa_user_sgpr_kernarg_segment_ptr 1
		.amdhsa_user_sgpr_dispatch_id 1
		.amdhsa_user_sgpr_kernarg_preload_length 0
		.amdhsa_user_sgpr_kernarg_preload_offset 0
		.amdhsa_user_sgpr_private_segment_size 0
		.amdhsa_uses_dynamic_stack 1
		.amdhsa_enable_private_segment 1
		.amdhsa_system_sgpr_workgroup_id_x 1
		.amdhsa_system_sgpr_workgroup_id_y 1
		.amdhsa_system_sgpr_workgroup_id_z 1
		.amdhsa_system_sgpr_workgroup_info 0
		.amdhsa_system_vgpr_workitem_id 2
		.amdhsa_next_free_vgpr max(totalnumvgprs(_Z23ncclDevKernel_Generic_124ncclDevKernelArgsStorageILm4096EE.num_agpr, _Z23ncclDevKernel_Generic_124ncclDevKernelArgsStorageILm4096EE.num_vgpr), 1, 0)
		.amdhsa_next_free_sgpr max(_Z23ncclDevKernel_Generic_124ncclDevKernelArgsStorageILm4096EE.numbered_sgpr+6, 1, 0)-6
		.amdhsa_accum_offset (((((alignto(max(1, _Z23ncclDevKernel_Generic_124ncclDevKernelArgsStorageILm4096EE.num_vgpr), 4)/4)-1)&~65536)&63)+1)*4
		.amdhsa_reserve_vcc 1
		.amdhsa_float_round_mode_32 0
		.amdhsa_float_round_mode_16_64 0
		.amdhsa_float_denorm_mode_32 3
		.amdhsa_float_denorm_mode_16_64 3
		.amdhsa_dx10_clamp 1
		.amdhsa_ieee_mode 1
		.amdhsa_fp16_overflow 0
		.amdhsa_tg_split 0
		.amdhsa_exception_fp_ieee_invalid_op 0
		.amdhsa_exception_fp_denorm_src 0
		.amdhsa_exception_fp_ieee_div_zero 0
		.amdhsa_exception_fp_ieee_overflow 0
		.amdhsa_exception_fp_ieee_underflow 0
		.amdhsa_exception_fp_ieee_inexact 0
		.amdhsa_exception_int_div_zero 0
	.end_amdhsa_kernel
	.text
.Lfunc_end0:
	.size	_Z23ncclDevKernel_Generic_124ncclDevKernelArgsStorageILm4096EE, .Lfunc_end0-_Z23ncclDevKernel_Generic_124ncclDevKernelArgsStorageILm4096EE
                                        ; -- End function
	.set _Z23ncclDevKernel_Generic_124ncclDevKernelArgsStorageILm4096EE.num_vgpr, max(60, amdgpu.max_num_vgpr)
	.set _Z23ncclDevKernel_Generic_124ncclDevKernelArgsStorageILm4096EE.num_agpr, max(0, amdgpu.max_num_agpr)
	.set _Z23ncclDevKernel_Generic_124ncclDevKernelArgsStorageILm4096EE.numbered_sgpr, max(82, amdgpu.max_num_sgpr)
	.set _Z23ncclDevKernel_Generic_124ncclDevKernelArgsStorageILm4096EE.num_named_barrier, max(0, amdgpu.max_num_named_barrier)
	.set _Z23ncclDevKernel_Generic_124ncclDevKernelArgsStorageILm4096EE.private_seg_size, 0
	.set _Z23ncclDevKernel_Generic_124ncclDevKernelArgsStorageILm4096EE.uses_vcc, 1
	.set _Z23ncclDevKernel_Generic_124ncclDevKernelArgsStorageILm4096EE.uses_flat_scratch, 1
	.set _Z23ncclDevKernel_Generic_124ncclDevKernelArgsStorageILm4096EE.has_dyn_sized_stack, 1
	.set _Z23ncclDevKernel_Generic_124ncclDevKernelArgsStorageILm4096EE.has_recursion, 1
	.set _Z23ncclDevKernel_Generic_124ncclDevKernelArgsStorageILm4096EE.has_indirect_call, 1
	.section	.AMDGPU.csdata,"",@progbits
; Kernel info:
; codeLenInByte = 19256
; TotalNumSgprs: _Z23ncclDevKernel_Generic_124ncclDevKernelArgsStorageILm4096EE.numbered_sgpr+6
; NumVgprs: _Z23ncclDevKernel_Generic_124ncclDevKernelArgsStorageILm4096EE.num_vgpr
; NumAgprs: _Z23ncclDevKernel_Generic_124ncclDevKernelArgsStorageILm4096EE.num_agpr
; TotalNumVgprs: totalnumvgprs(_Z23ncclDevKernel_Generic_124ncclDevKernelArgsStorageILm4096EE.num_agpr, _Z23ncclDevKernel_Generic_124ncclDevKernelArgsStorageILm4096EE.num_vgpr)
; ScratchSize: 0
; MemoryBound: 0
; FloatMode: 240
; IeeeMode: 1
; LDSByteSize: 37600 bytes/workgroup (compile time only)
; SGPRBlocks: (alignto(max(max(_Z23ncclDevKernel_Generic_124ncclDevKernelArgsStorageILm4096EE.numbered_sgpr+extrasgprs(_Z23ncclDevKernel_Generic_124ncclDevKernelArgsStorageILm4096EE.uses_vcc, _Z23ncclDevKernel_Generic_124ncclDevKernelArgsStorageILm4096EE.uses_flat_scratch, 1), 1, 0), 1), 8)/8)-1
; VGPRBlocks: (alignto(max(max(totalnumvgprs(_Z23ncclDevKernel_Generic_124ncclDevKernelArgsStorageILm4096EE.num_agpr, _Z23ncclDevKernel_Generic_124ncclDevKernelArgsStorageILm4096EE.num_vgpr), 1, 0), 1), 8)/8)-1
; NumSGPRsForWavesPerEU: max(_Z23ncclDevKernel_Generic_124ncclDevKernelArgsStorageILm4096EE.numbered_sgpr+6, 1, 0)
; NumVGPRsForWavesPerEU: max(totalnumvgprs(_Z23ncclDevKernel_Generic_124ncclDevKernelArgsStorageILm4096EE.num_agpr, _Z23ncclDevKernel_Generic_124ncclDevKernelArgsStorageILm4096EE.num_vgpr), 1, 0)
; AccumOffset: ((alignto(max(1, _Z23ncclDevKernel_Generic_124ncclDevKernelArgsStorageILm4096EE.num_vgpr), 4)/4)-1+1)*4
; Occupancy: occupancy(8, 8, 512, 8, 8, max(_Z23ncclDevKernel_Generic_124ncclDevKernelArgsStorageILm4096EE.numbered_sgpr+extrasgprs(_Z23ncclDevKernel_Generic_124ncclDevKernelArgsStorageILm4096EE.uses_vcc, _Z23ncclDevKernel_Generic_124ncclDevKernelArgsStorageILm4096EE.uses_flat_scratch, 1), 1, 0), max(totalnumvgprs(_Z23ncclDevKernel_Generic_124ncclDevKernelArgsStorageILm4096EE.num_agpr, _Z23ncclDevKernel_Generic_124ncclDevKernelArgsStorageILm4096EE.num_vgpr), 1, 0))
; WaveLimiterHint : 0
; COMPUTE_PGM_RSRC2:SCRATCH_EN: 1
; COMPUTE_PGM_RSRC2:USER_SGPR: 8
; COMPUTE_PGM_RSRC2:TRAP_HANDLER: 0
; COMPUTE_PGM_RSRC2:TGID_X_EN: 1
; COMPUTE_PGM_RSRC2:TGID_Y_EN: 1
; COMPUTE_PGM_RSRC2:TGID_Z_EN: 1
; COMPUTE_PGM_RSRC2:TIDIG_COMP_CNT: 2
; COMPUTE_PGM_RSRC3_GFX90A:ACCUM_OFFSET: (((alignto(max(1, _Z23ncclDevKernel_Generic_124ncclDevKernelArgsStorageILm4096EE.num_vgpr), 4)/4)-1)&~65536)&63
; COMPUTE_PGM_RSRC3_GFX90A:TG_SPLIT: 0
	.text
	.protected	_Z23ncclDevKernel_Generic_224ncclDevKernelArgsStorageILm4096EE ; -- Begin function _Z23ncclDevKernel_Generic_224ncclDevKernelArgsStorageILm4096EE
	.globl	_Z23ncclDevKernel_Generic_224ncclDevKernelArgsStorageILm4096EE
	.p2align	8
	.type	_Z23ncclDevKernel_Generic_224ncclDevKernelArgsStorageILm4096EE,@function
_Z23ncclDevKernel_Generic_224ncclDevKernelArgsStorageILm4096EE: ; @_Z23ncclDevKernel_Generic_224ncclDevKernelArgsStorageILm4096EE
; %bb.0:
	v_mov_b32_e32 v40, v0
	v_and_b32_e32 v7, 0x3ff, v40
	s_mov_b32 s33, s10
	s_mov_b32 s54, s9
	;; [unrolled: 1-line block ×3, first 2 shown]
	s_mov_b64 s[34:35], s[6:7]
	s_mov_b64 s[36:37], s[4:5]
	;; [unrolled: 1-line block ×4, first 2 shown]
	v_cmp_gt_u32_e32 vcc, 12, v7
	s_mov_b32 s32, 0
	s_and_saveexec_b64 s[0:1], vcc
	s_cbranch_execz .LBB1_2
; %bb.1:
	v_lshlrev_b32_e32 v0, 2, v7
	global_load_dword v1, v0, s[36:37]
	s_waitcnt vmcnt(0)
	ds_write_b32 v0, v1 offset:32896
.LBB1_2:
	s_or_b64 exec, exec, s[0:1]
	s_load_dword s14, s[36:37], 0x100c
	v_lshrrev_b32_e32 v8, 6, v7
	v_cmp_lt_i32_e32 vcc, 0, v8
	s_and_saveexec_b64 s[0:1], vcc
	s_xor_b64 s[0:1], exec, s[0:1]
	s_cbranch_execz .LBB1_16
; %bb.3:
	v_cmp_lt_i32_e32 vcc, 2, v8
	s_and_saveexec_b64 s[2:3], vcc
	s_xor_b64 s[2:3], exec, s[2:3]
	s_cbranch_execz .LBB1_8
; %bb.4:
	v_cmp_eq_u32_e32 vcc, 3, v8
	s_and_saveexec_b64 s[4:5], vcc
	s_cbranch_execz .LBB1_7
; %bb.5:
	s_movk_i32 s6, 0xc0
	v_cmp_eq_u32_e32 vcc, s6, v7
	s_and_b64 exec, exec, vcc
; %bb.6:
	v_mov_b32_e32 v0, 0
	ds_write_b32 v0, v0 offset:32948
.LBB1_7:
	s_or_b64 exec, exec, s[4:5]
.LBB1_8:
	s_andn2_saveexec_b64 s[2:3], s[2:3]
	s_cbranch_execz .LBB1_15
; %bb.9:
	v_cmp_eq_u32_e32 vcc, 1, v8
	s_and_saveexec_b64 s[4:5], vcc
	s_cbranch_execz .LBB1_14
; %bb.10:
	s_movk_i32 s6, 0x48
	v_cmp_gt_u32_e32 vcc, s6, v7
	s_and_b64 exec, exec, vcc
	s_cbranch_execz .LBB1_14
; %bb.11:
	v_cmp_eq_u32_e32 vcc, 64, v7
	s_and_saveexec_b64 s[6:7], vcc
; %bb.12:
	v_mov_b32_e32 v0, 0
	v_mov_b32_e32 v1, v0
	ds_write_b64 v0, v[0:1] offset:37592
; %bb.13:
	s_or_b64 exec, exec, s[6:7]
	v_mov_b32_e32 v2, 0
	v_mul_u32_u24_e32 v0, 0x160, v7
	v_mov_b32_e32 v3, v2
	ds_write_b64 v0, v[2:3] offset:11224
.LBB1_14:
	s_or_b64 exec, exec, s[4:5]
.LBB1_15:
	s_or_b64 exec, exec, s[2:3]
.LBB1_16:
	s_andn2_saveexec_b64 s[0:1], s[0:1]
	s_cbranch_execz .LBB1_22
; %bb.17:
	s_load_dwordx2 s[4:5], s[36:37], 0x8
	v_lshlrev_b64 v[2:3], v7, 1
	s_mov_b64 s[2:3], 0
	v_lshl_add_u64 v[0:1], v[2:3], 0, -1
	s_waitcnt lgkmcnt(0)
	v_and_b32_e32 v5, s5, v3
	v_and_b32_e32 v4, s4, v2
	v_cmp_eq_u64_e64 s[8:9], 0, v[4:5]
	v_cmp_ne_u64_e32 vcc, 0, v[4:5]
	s_and_saveexec_b64 s[6:7], vcc
	s_cbranch_execz .LBB1_54
; %bb.18:
	v_and_b32_e32 v5, s4, v0
	v_and_b32_e32 v4, s5, v1
	v_bcnt_u32_b32 v5, v5, 0
	v_bcnt_u32_b32 v4, v4, v5
	v_cmp_ne_u32_e32 vcc, s55, v4
	s_andn2_b64 s[8:9], s[8:9], exec
	s_and_b64 s[10:11], vcc, exec
	s_mov_b64 s[2:3], exec
	s_or_b64 s[8:9], s[8:9], s[10:11]
	s_or_b64 exec, exec, s[6:7]
	v_mov_b32_e32 v4, 0
	s_and_saveexec_b64 s[6:7], s[8:9]
	s_cbranch_execnz .LBB1_55
.LBB1_19:
	s_or_b64 exec, exec, s[6:7]
	s_and_saveexec_b64 s[4:5], s[2:3]
.LBB1_20:
	v_add_u32_e32 v0, v4, v7
	v_mov_b32_e32 v1, 0
	ds_write_b32 v1, v0 offset:32944
.LBB1_21:
	s_or_b64 exec, exec, s[4:5]
.LBB1_22:
	s_or_b64 exec, exec, s[0:1]
	v_cmp_eq_u32_e64 s[50:51], 0, v7
	s_waitcnt lgkmcnt(0)
	s_barrier
	s_and_saveexec_b64 s[0:1], s[50:51]
	s_cbranch_execz .LBB1_24
; %bb.23:
	v_mov_b32_e32 v4, 0
	ds_read_b32 v2, v4 offset:32944
	ds_read_b64 v[0:1], v4 offset:32896
	s_movk_i32 s2, 0x180
	s_waitcnt lgkmcnt(1)
	v_mul_hi_i32 v3, v2, s2
	v_mul_lo_u32 v2, v2, s2
	s_waitcnt lgkmcnt(0)
	v_lshl_add_u64 v[0:1], v[0:1], 0, v[2:3]
	flat_load_dwordx2 v[0:1], v[0:1] offset:464
	ds_write_b32 v4, v4 offset:32948
	s_waitcnt vmcnt(0) lgkmcnt(0)
	ds_write_b64 v4, v[0:1] offset:33424
.LBB1_24:
	s_or_b64 exec, exec, s[0:1]
	s_and_b32 s68, 0xffff, s14
	v_cmp_lt_i32_e32 vcc, 0, v8
	s_and_saveexec_b64 s[0:1], vcc
	s_xor_b64 s[4:5], exec, s[0:1]
	s_cbranch_execz .LBB1_63
; %bb.25:
	v_cmp_ne_u32_e32 vcc, 1, v8
	s_and_saveexec_b64 s[0:1], vcc
	s_xor_b64 s[6:7], exec, s[0:1]
	s_cbranch_execz .LBB1_58
; %bb.26:
	v_add_u32_e32 v11, 0xffffff80, v7
	v_ashrrev_i16_e32 v0, 15, v11
	v_lshrrev_b16_e32 v0, 10, v0
	v_add_u16_e32 v0, v11, v0
	v_and_b32_e32 v0, 0xffffffc0, v0
	v_sub_u16_e32 v9, v11, v0
	v_bfe_i32 v0, v9, 0, 16
	v_lshlrev_b64 v[0:1], v0, 1
	s_add_i32 s16, s68, 0xffffff80
	s_movk_i32 s17, 0xffc0
	v_mul_u32_u24_e32 v10, 0x1010, v8
	v_lshl_add_u64 v[2:3], v[0:1], 0, -1
	s_mov_b32 s18, 0
	v_mov_b32_e32 v5, 0
	s_mov_b32 s19, 0x66666667
	s_mov_b32 s8, s55
                                        ; implicit-def: $vgpr16_vgpr17_vgpr18_vgpr19
	s_branch .LBB1_29
.LBB1_27:                               ;   in Loop: Header=BB1_29 Depth=1
	s_or_b64 exec, exec, s[12:13]
	s_mov_b32 s11, s8
	v_mov_b32_e32 v4, v11
.LBB1_28:                               ;   in Loop: Header=BB1_29 Depth=1
	s_andn2_b64 vcc, exec, s[2:3]
	s_mov_b32 s8, s11
	v_mov_b32_e32 v11, v4
	s_cbranch_vccz .LBB1_58
.LBB1_29:                               ; =>This Inner Loop Header: Depth=1
	s_ashr_i32 s9, s8, 31
	s_lshl_b64 s[0:1], s[8:9], 4
	s_add_u32 s0, s36, s0
	s_addc_u32 s1, s37, s1
	s_load_dwordx2 s[2:3], s[0:1], 0x38
	s_waitcnt lgkmcnt(0)
	v_and_b32_e32 v13, s3, v1
	v_and_b32_e32 v12, s2, v0
	v_cmp_ne_u64_e32 vcc, 0, v[12:13]
	s_and_saveexec_b64 s[10:11], vcc
	s_cbranch_execz .LBB1_31
; %bb.30:                               ;   in Loop: Header=BB1_29 Depth=1
	v_and_b32_e32 v6, s2, v2
	v_and_b32_e32 v4, s3, v3
	v_bcnt_u32_b32 v6, v6, 0
	v_bcnt_u32_b32 v4, v4, v6
	v_add_u32_e32 v4, v10, v4
	ds_write_b8 v4, v9
.LBB1_31:                               ;   in Loop: Header=BB1_29 Depth=1
	s_or_b64 exec, exec, s[10:11]
	s_load_dwordx2 s[10:11], s[0:1], 0x30
	s_bcnt1_i32_b64 s20, s[2:3]
	s_mov_b64 s[0:1], -1
                                        ; implicit-def: $vgpr12
                                        ; implicit-def: $vgpr13
                                        ; implicit-def: $vgpr4
                                        ; implicit-def: $vgpr14
	s_waitcnt lgkmcnt(0)
	s_bfe_u32 s9, s10, 0x2000f
	s_cmp_lt_i32 s9, 1
	s_cbranch_scc1 .LBB1_39
; %bb.32:                               ;   in Loop: Header=BB1_29 Depth=1
	s_cmp_lg_u32 s9, 1
                                        ; implicit-def: $vgpr12
                                        ; implicit-def: $vgpr13
                                        ; implicit-def: $vgpr4
	s_cbranch_scc0 .LBB1_34
; %bb.33:                               ;   in Loop: Header=BB1_29 Depth=1
	v_mul_hi_i32 v6, v11, s19
	v_lshrrev_b32_e32 v12, 31, v6
	v_ashrrev_i32_e32 v6, 3, v6
	v_add_u32_e32 v12, v6, v12
	v_mul_lo_u32 v6, v12, 20
	v_mul_u32_u24_e64 v4, s20, 20
	v_sub_u32_e32 v13, v11, v6
	s_mov_b64 s[0:1], 0
.LBB1_34:                               ;   in Loop: Header=BB1_29 Depth=1
	s_andn2_b64 vcc, exec, s[0:1]
	s_movk_i32 s2, 0x140
	s_cbranch_vccnz .LBB1_36
; %bb.35:                               ;   in Loop: Header=BB1_29 Depth=1
	v_ashrrev_i32_e32 v4, 31, v11
	v_lshrrev_b32_e32 v4, 29, v4
	v_add_u32_e32 v4, v11, v4
	s_lshl_b32 s0, s20, 3
	v_ashrrev_i32_e32 v12, 3, v4
	v_and_b32_e32 v4, -8, v4
	v_sub_u32_e32 v13, v11, v4
	s_movk_i32 s2, 0x80
	v_mov_b32_e32 v4, s0
.LBB1_36:                               ;   in Loop: Header=BB1_29 Depth=1
	v_mov_b32_e32 v14, s2
	s_cbranch_execz .LBB1_40
.LBB1_37:                               ;   in Loop: Header=BB1_29 Depth=1
	v_cmp_eq_u32_e64 s[0:1], 0, v11
	s_and_saveexec_b64 s[2:3], s[0:1]
	s_cbranch_execz .LBB1_41
.LBB1_38:                               ;   in Loop: Header=BB1_29 Depth=1
	ds_write_b32 v5, v14 offset:33456
	s_or_b64 exec, exec, s[2:3]
	v_cmp_lt_i32_e32 vcc, v11, v4
	s_and_saveexec_b64 s[12:13], vcc
	s_cbranch_execz .LBB1_49
	s_branch .LBB1_42
.LBB1_39:                               ;   in Loop: Header=BB1_29 Depth=1
	s_andn2_b64 vcc, exec, s[0:1]
	s_cbranch_vccnz .LBB1_37
.LBB1_40:                               ;   in Loop: Header=BB1_29 Depth=1
	v_ashrrev_i32_e32 v4, 31, v11
	v_lshrrev_b32_e32 v4, 30, v4
	v_add_u32_e32 v4, v11, v4
	s_lshl_b32 s0, s20, 2
	v_ashrrev_i32_e32 v12, 2, v4
	v_and_b32_e32 v4, -4, v4
	v_sub_u32_e32 v13, v11, v4
	v_mov_b32_e32 v14, 64
	v_mov_b32_e32 v4, s0
	v_cmp_eq_u32_e64 s[0:1], 0, v11
	s_and_saveexec_b64 s[2:3], s[0:1]
	s_cbranch_execnz .LBB1_38
.LBB1_41:                               ;   in Loop: Header=BB1_29 Depth=1
	s_or_b64 exec, exec, s[2:3]
	v_cmp_lt_i32_e32 vcc, v11, v4
	s_and_saveexec_b64 s[12:13], vcc
	s_cbranch_execz .LBB1_49
.LBB1_42:                               ;   in Loop: Header=BB1_29 Depth=1
	ds_read_u8 v6, v5 offset:32920
	v_add_u32_e32 v4, v10, v12
	ds_read_u8 v4, v4
	s_waitcnt lgkmcnt(1)
	v_cmp_ne_u32_e64 s[2:3], 0, v6
	s_and_b64 vcc, exec, s[2:3]
	s_cbranch_vccz .LBB1_45
; %bb.43:                               ;   in Loop: Header=BB1_29 Depth=1
	s_mov_b64 s[14:15], -1
	s_and_b64 vcc, exec, s[2:3]
                                        ; implicit-def: $vgpr20_vgpr21_vgpr22_vgpr23
                                        ; implicit-def: $vgpr6
	s_cbranch_vccz .LBB1_46
.LBB1_44:                               ;   in Loop: Header=BB1_29 Depth=1
	ds_read_b32 v15, v5 offset:32924
	ds_read_b64 v[20:21], v5 offset:32928
	s_waitcnt lgkmcnt(2)
	v_mul_u32_u24_e32 v4, v14, v4
	v_lshlrev_b32_e32 v6, 4, v13
	v_add3_u32 v4, v6, s11, v4
	s_waitcnt lgkmcnt(1)
	v_and_b32_e32 v4, v15, v4
	s_waitcnt lgkmcnt(0)
	v_lshl_add_u64 v[20:21], v[20:21], 0, v[4:5]
	flat_load_dwordx4 v[20:23], v[20:21]
	s_cbranch_execz .LBB1_47
	s_branch .LBB1_48
.LBB1_45:                               ;   in Loop: Header=BB1_29 Depth=1
	s_waitcnt lgkmcnt(0)
	v_mul_u32_u24_e32 v6, v14, v4
	v_lshlrev_b32_e32 v15, 4, v13
	v_add3_u32 v6, v15, s11, v6
	global_load_dwordx4 v[16:19], v6, s[36:37]
	s_mov_b64 s[14:15], -1
	s_and_b64 vcc, exec, s[2:3]
                                        ; implicit-def: $vgpr20_vgpr21_vgpr22_vgpr23
                                        ; implicit-def: $vgpr6
	s_cbranch_vccnz .LBB1_44
.LBB1_46:                               ;   in Loop: Header=BB1_29 Depth=1
	s_andn2_b64 vcc, exec, s[14:15]
	s_cbranch_vccnz .LBB1_48
.LBB1_47:                               ;   in Loop: Header=BB1_29 Depth=1
	s_waitcnt vmcnt(0) lgkmcnt(0)
	v_mov_b64_e32 v[22:23], v[18:19]
	v_lshlrev_b32_e32 v6, 4, v13
	v_mov_b64_e32 v[20:21], v[16:17]
.LBB1_48:                               ;   in Loop: Header=BB1_29 Depth=1
	s_waitcnt lgkmcnt(0)
	v_add_u32_e32 v4, s18, v12
	s_waitcnt vmcnt(0)
	v_mov_b64_e32 v[16:17], v[20:21]
	v_mad_u64_u32 v[12:13], s[2:3], v4, v14, v[6:7]
	v_mov_b64_e32 v[18:19], v[22:23]
	ds_write_b128 v12, v[20:23] offset:36560
.LBB1_49:                               ;   in Loop: Header=BB1_29 Depth=1
	s_or_b64 exec, exec, s[12:13]
	s_bitcmp0_b32 s10, 14
	s_cselect_b64 s[2:3], -1, 0
	s_mov_b64 s[12:13], -1
	s_and_b64 vcc, exec, s[2:3]
	v_readfirstlane_b32 s11, v0
                                        ; implicit-def: $vgpr4
	s_cbranch_vccnz .LBB1_51
; %bb.50:                               ;   in Loop: Header=BB1_29 Depth=1
	v_mov_b32_e32 v4, s16
	v_cmp_gt_i32_e32 vcc, 64, v11
	s_and_b32 s11, s10, 0x3fff
	s_add_i32 s11, s11, s8
	v_cndmask_b32_e32 v4, 0, v4, vcc
	v_add3_u32 v4, v11, v4, s17
	s_add_i32 s18, s18, s20
	s_cbranch_execnz .LBB1_28
	s_branch .LBB1_52
.LBB1_51:                               ;   in Loop: Header=BB1_29 Depth=1
	s_andn2_b64 vcc, exec, s[12:13]
	s_add_i32 s18, s18, s20
	s_cbranch_vccnz .LBB1_28
.LBB1_52:                               ;   in Loop: Header=BB1_29 Depth=1
	s_and_saveexec_b64 s[12:13], s[0:1]
	s_cbranch_execz .LBB1_27
; %bb.53:                               ;   in Loop: Header=BB1_29 Depth=1
	s_and_b32 s0, s10, 0x3fff
	s_add_i32 s1, s0, s8
	s_cmp_lg_u32 s0, 0
	s_cselect_b32 s0, s1, -1
	v_mov_b32_e32 v4, s9
	v_mov_b32_e32 v13, s0
	ds_write_b8 v5, v4 offset:33448
	v_mov_b32_e32 v4, s18
	s_lshr_b32 s0, s10, 17
	v_mov_b32_e32 v12, s8
	ds_write_b32 v5, v4 offset:33452
	v_mov_b32_e32 v4, s0
	v_mov_b32_e32 v11, 0
	ds_write_b64 v5, v[12:13] offset:33440
	ds_write_b16 v5, v4 offset:33450
	s_branch .LBB1_27
.LBB1_54:
	s_or_b64 exec, exec, s[6:7]
	v_mov_b32_e32 v4, 0
	s_and_saveexec_b64 s[6:7], s[8:9]
	s_cbranch_execz .LBB1_19
.LBB1_55:
	s_load_dwordx2 s[12:13], s[36:37], 0x10
	s_mov_b64 s[8:9], 0
                                        ; implicit-def: $sgpr15
	s_waitcnt lgkmcnt(0)
	v_and_b32_e32 v3, s13, v3
	v_and_b32_e32 v2, s12, v2
	v_cmp_ne_u64_e32 vcc, 0, v[2:3]
	s_and_saveexec_b64 s[10:11], vcc
	s_xor_b64 s[10:11], exec, s[10:11]
; %bb.56:
	v_and_b32_e32 v0, s12, v0
	v_and_b32_e32 v1, s13, v1
	v_bcnt_u32_b32 v0, v0, 0
	s_bcnt1_i32_b64 s15, s[4:5]
	v_bcnt_u32_b32 v0, v1, v0
	v_add_u32_e32 v0, s15, v0
	v_cmp_eq_u32_e32 vcc, s55, v0
	s_and_b64 s[8:9], vcc, exec
; %bb.57:
	s_or_b64 exec, exec, s[10:11]
	s_andn2_b64 s[2:3], s[2:3], exec
	s_and_b64 s[4:5], s[8:9], exec
	v_mov_b32_e32 v4, s15
	s_or_b64 s[2:3], s[2:3], s[4:5]
	s_or_b64 exec, exec, s[6:7]
	s_and_saveexec_b64 s[4:5], s[2:3]
	s_cbranch_execnz .LBB1_20
	s_branch .LBB1_21
.LBB1_58:
	s_andn2_saveexec_b64 s[0:1], s[6:7]
	s_cbranch_execz .LBB1_62
; %bb.59:
	s_movk_i32 s2, 0x58
	v_cmp_gt_u32_e32 vcc, s2, v7
	s_and_saveexec_b64 s[2:3], vcc
	s_cbranch_execz .LBB1_61
; %bb.60:
	v_mov_b32_e32 v0, 0
	ds_read_b32 v2, v0 offset:32944
	ds_read_b64 v[0:1], v0 offset:32896
	s_movk_i32 s6, 0x180
	v_lshlrev_b32_e32 v4, 4, v7
	s_waitcnt lgkmcnt(1)
	v_mul_hi_i32 v3, v2, s6
	v_mul_lo_u32 v2, v2, s6
	s_waitcnt lgkmcnt(0)
	v_lshl_add_u64 v[0:1], v[0:1], 0, v[2:3]
	v_add_u32_e32 v2, 0xfffffc00, v4
	v_ashrrev_i32_e32 v3, 31, v2
	v_lshl_add_u64 v[0:1], v[0:1], 0, v[2:3]
	flat_load_dwordx4 v[0:3], v[0:1] offset:96
	s_waitcnt vmcnt(0) lgkmcnt(0)
	ds_write_b128 v4, v[0:3] offset:32032
.LBB1_61:
	s_or_b64 exec, exec, s[2:3]
.LBB1_62:
	s_or_b64 exec, exec, s[0:1]
.LBB1_63:
	s_andn2_saveexec_b64 s[0:1], s[4:5]
	s_cbranch_execz .LBB1_67
; %bb.64:
	v_cmp_gt_u32_e32 vcc, 6, v7
	s_and_saveexec_b64 s[2:3], vcc
	s_cbranch_execz .LBB1_66
; %bb.65:
	v_mov_b32_e32 v5, 0
	ds_read_b64 v[0:1], v5 offset:32896
	v_lshlrev_b32_e32 v4, 4, v7
	s_waitcnt lgkmcnt(0)
	v_lshl_add_u64 v[0:1], v[0:1], 0, v[4:5]
	flat_load_dwordx4 v[0:3], v[0:1]
	s_waitcnt vmcnt(0) lgkmcnt(0)
	ds_write_b128 v4, v[0:3] offset:32960
.LBB1_66:
	s_or_b64 exec, exec, s[2:3]
.LBB1_67:
	s_or_b64 exec, exec, s[0:1]
	v_mov_b32_e32 v43, 0
	s_waitcnt lgkmcnt(0)
	s_barrier
	ds_read_b32 v0, v43 offset:32948
	s_waitcnt lgkmcnt(0)
	v_cmp_ne_u32_e32 vcc, 0, v0
	s_cbranch_vccz .LBB1_80
.LBB1_68:
	s_and_saveexec_b64 s[0:1], s[50:51]
	s_cbranch_execz .LBB1_79
; %bb.69:
	v_mov_b32_e32 v5, 0
	ds_read_b64 v[2:3], v5 offset:33424
	ds_read_b32 v6, v5 offset:33452
	s_waitcnt lgkmcnt(0)
	v_lshl_add_u64 v[0:1], v[2:3], 0, 1
	v_ashrrev_i32_e32 v7, 31, v6
	v_lshl_add_u64 v[8:9], v[2:3], 0, v[6:7]
	v_cmp_gt_u64_e32 vcc, v[0:1], v[8:9]
	s_cbranch_vccnz .LBB1_78
; %bb.70:
	ds_read_u8 v10, v5 offset:33448
	s_mov_b32 s2, 0x8f0e
	s_mov_b32 s3, 0x8eda
	s_branch .LBB1_72
.LBB1_71:                               ;   in Loop: Header=BB1_72 Depth=1
	s_waitcnt lgkmcnt(0)
	v_ashrrev_i32_e32 v7, 31, v6
	v_lshl_add_u64 v[0:1], v[0:1], 0, 1
	v_lshl_add_u64 v[8:9], v[2:3], 0, v[6:7]
	v_cmp_le_u64_e32 vcc, v[0:1], v[8:9]
	s_add_i32 s2, s2, 64
	s_addk_i32 s3, 0x80
	s_cbranch_vccz .LBB1_78
.LBB1_72:                               ; =>This Inner Loop Header: Depth=1
	s_waitcnt lgkmcnt(0)
	v_cmp_ne_u32_sdwa s[0:1], v10, v5 src0_sel:BYTE_0 src1_sel:DWORD
	s_and_b64 vcc, exec, s[0:1]
	s_cbranch_vccz .LBB1_77
; %bb.73:                               ;   in Loop: Header=BB1_72 Depth=1
	v_mov_b32_e32 v4, s3
	ds_read_u8 v4, v4
	s_waitcnt lgkmcnt(0)
	v_and_b32_e32 v4, 1, v4
	s_cbranch_execnz .LBB1_75
.LBB1_74:                               ;   in Loop: Header=BB1_72 Depth=1
	v_mov_b32_e32 v4, s2
	ds_read_u16 v4, v4
	s_waitcnt lgkmcnt(0)
	v_bfe_u32 v4, v4, 6, 1
.LBB1_75:                               ;   in Loop: Header=BB1_72 Depth=1
	v_cmp_eq_u32_e32 vcc, 0, v4
	s_cbranch_vccnz .LBB1_71
; %bb.76:                               ;   in Loop: Header=BB1_72 Depth=1
	s_memrealtime s[0:1]
	ds_read_u8 v10, v5 offset:33448
	ds_read_b32 v2, v5 offset:32944
	ds_read_b64 v[6:7], v5 offset:33048
	v_and_b32_e32 v4, 63, v0
	v_lshlrev_b32_e32 v4, 4, v4
	s_waitcnt lgkmcnt(0)
	v_ashrrev_i32_e32 v3, 31, v2
	v_lshlrev_b64 v[2:3], 10, v[2:3]
	v_lshl_add_u64 v[2:3], v[6:7], 0, v[2:3]
	v_lshl_add_u64 v[6:7], v[2:3], 0, v[4:5]
	v_mov_b32_e32 v2, s0
	v_mov_b32_e32 v3, s1
	flat_store_dwordx4 v[6:7], v[0:3]
	ds_read_b64 v[2:3], v5 offset:33424
	ds_read_b32 v6, v5 offset:33452
	s_branch .LBB1_71
.LBB1_77:                               ;   in Loop: Header=BB1_72 Depth=1
                                        ; implicit-def: $vgpr4
	s_branch .LBB1_74
.LBB1_78:
	v_mov_b32_e32 v2, 0
	ds_read_b32 v4, v2 offset:32944
	ds_read_b64 v[0:1], v2 offset:32896
	s_movk_i32 s0, 0x180
	ds_write_b64 v2, v[8:9] offset:33424
	s_waitcnt lgkmcnt(0)
	v_mul_hi_i32 v3, v4, s0
	v_mul_lo_u32 v2, v4, s0
	v_lshl_add_u64 v[0:1], v[0:1], 0, v[2:3]
	flat_store_dwordx2 v[0:1], v[8:9] offset:464
.LBB1_79:
	s_endpgm
.LBB1_80:
	s_movk_i32 s0, 0x48
	v_cmp_eq_u32_e32 vcc, 1, v8
	v_cmp_gt_u32_e64 s[0:1], s0, v7
	s_and_b64 s[64:65], vcc, s[0:1]
	s_movk_i32 s0, 0x160
	v_mov_b32_e32 v0, 0x2bd8
	v_lshlrev_b64 v[44:45], v7, 1
	v_cmp_eq_u32_e64 s[52:53], 64, v7
	v_mad_u32_u24 v41, v7, s0, v0
	v_and_b32_e32 v56, 63, v7
	v_mul_u32_u24_e32 v57, 0x1010, v8
	v_lshl_add_u64 v[46:47], v[44:45], 0, -1
	s_movk_i32 s69, 0x58
	s_mov_b32 s70, 0x66666667
	s_movk_i32 s71, 0xffc0
	v_mov_b32_e32 v58, v43
	v_mov_b32_e32 v59, v43
	s_branch .LBB1_82
.LBB1_81:                               ;   in Loop: Header=BB1_82 Depth=1
	s_waitcnt lgkmcnt(0)
	s_barrier
	ds_read_b32 v0, v43 offset:32948
	s_waitcnt lgkmcnt(0)
	v_cmp_ne_u32_e64 s[0:1], 0, v0
	s_and_b64 vcc, exec, s[0:1]
	s_cbranch_vccnz .LBB1_68
.LBB1_82:                               ; =>This Loop Header: Depth=1
                                        ;     Child Loop BB1_86 Depth 2
                                        ;     Child Loop BB1_741 Depth 2
                                        ;     Child Loop BB1_752 Depth 2
	s_and_saveexec_b64 s[0:1], s[50:51]
	s_cbranch_execz .LBB1_92
; %bb.83:                               ;   in Loop: Header=BB1_82 Depth=1
	ds_read_b64 v[2:3], v43 offset:33424
	ds_read_b32 v4, v43 offset:33452
	s_waitcnt lgkmcnt(0)
	v_lshl_add_u64 v[0:1], v[2:3], 0, 1
	s_waitcnt lgkmcnt(0)
	v_ashrrev_i32_e32 v5, 31, v4
	v_lshl_add_u64 v[6:7], v[2:3], 0, v[4:5]
	v_cmp_gt_u64_e32 vcc, v[0:1], v[6:7]
	s_cbranch_vccnz .LBB1_92
; %bb.84:                               ;   in Loop: Header=BB1_82 Depth=1
	ds_read_u8 v6, v43 offset:33448
	s_mov_b32 s4, 0x8f0e
	s_mov_b32 s5, 0x8eda
	s_branch .LBB1_86
.LBB1_85:                               ;   in Loop: Header=BB1_86 Depth=2
	s_waitcnt lgkmcnt(0)
	v_ashrrev_i32_e32 v5, 31, v4
	v_lshl_add_u64 v[0:1], v[0:1], 0, 1
	v_lshl_add_u64 v[8:9], v[2:3], 0, v[4:5]
	v_cmp_le_u64_e32 vcc, v[0:1], v[8:9]
	s_add_i32 s4, s4, 64
	s_addk_i32 s5, 0x80
	s_cbranch_vccz .LBB1_92
.LBB1_86:                               ;   Parent Loop BB1_82 Depth=1
                                        ; =>  This Inner Loop Header: Depth=2
	s_waitcnt lgkmcnt(0)
	v_cmp_ne_u32_sdwa s[2:3], v6, v43 src0_sel:BYTE_0 src1_sel:DWORD
	s_and_b64 vcc, exec, s[2:3]
	s_cbranch_vccz .LBB1_91
; %bb.87:                               ;   in Loop: Header=BB1_86 Depth=2
	v_mov_b32_e32 v5, s5
	ds_read_u8 v5, v5
	s_waitcnt lgkmcnt(0)
	v_and_b32_e32 v5, 1, v5
	s_cbranch_execnz .LBB1_89
.LBB1_88:                               ;   in Loop: Header=BB1_86 Depth=2
	v_mov_b32_e32 v5, s4
	ds_read_u16 v5, v5
	s_waitcnt lgkmcnt(0)
	v_bfe_u32 v5, v5, 6, 1
.LBB1_89:                               ;   in Loop: Header=BB1_86 Depth=2
	v_cmp_eq_u32_e32 vcc, 0, v5
	s_cbranch_vccnz .LBB1_85
; %bb.90:                               ;   in Loop: Header=BB1_86 Depth=2
	s_memrealtime s[2:3]
	ds_read_u8 v6, v43 offset:33448
	ds_read_b32 v2, v43 offset:32944
	ds_read_b64 v[4:5], v43 offset:33040
	v_and_b32_e32 v7, 63, v0
	v_lshlrev_b32_e32 v42, 4, v7
	s_waitcnt lgkmcnt(0)
	v_ashrrev_i32_e32 v3, 31, v2
	v_lshlrev_b64 v[2:3], 10, v[2:3]
	v_lshl_add_u64 v[2:3], v[4:5], 0, v[2:3]
	v_lshl_add_u64 v[4:5], v[2:3], 0, v[42:43]
	v_mov_b32_e32 v2, s2
	v_mov_b32_e32 v3, s3
	flat_store_dwordx4 v[4:5], v[0:3]
	ds_read_b64 v[2:3], v43 offset:33424
	ds_read_b32 v4, v43 offset:33452
	s_branch .LBB1_85
.LBB1_91:                               ;   in Loop: Header=BB1_86 Depth=2
                                        ; implicit-def: $vgpr5
	s_branch .LBB1_88
.LBB1_92:                               ;   in Loop: Header=BB1_82 Depth=1
	s_or_b64 exec, exec, s[0:1]
	ds_read_u16 v0, v43 offset:33450
	s_waitcnt lgkmcnt(0)
	v_cmp_gt_u32_sdwa s[0:1], v0, s69 src0_sel:WORD_0 src1_sel:DWORD
	v_readfirstlane_b32 s80, v0
	s_and_b64 vcc, exec, s[0:1]
	s_mov_b64 s[0:1], -1
	s_cbranch_vccz .LBB1_421
; %bb.93:                               ;   in Loop: Header=BB1_82 Depth=1
	s_and_b32 s81, 0xffff, s80
	s_cmpk_gt_u32 s81, 0x85
	s_cbranch_scc0 .LBB1_258
; %bb.94:                               ;   in Loop: Header=BB1_82 Depth=1
	s_cmpk_gt_u32 s81, 0x9b
	s_cbranch_scc0 .LBB1_179
; %bb.95:                               ;   in Loop: Header=BB1_82 Depth=1
	;; [unrolled: 3-line block ×5, first 2 shown]
	s_sext_i32_i16 s0, s80
	s_mov_b64 s[2:3], -1
	s_mov_b64 s[66:67], 0
	s_cmpk_lt_i32 s0, 0xb1
	s_mov_b64 s[0:1], 0
	s_cbranch_scc1 .LBB1_104
; %bb.99:                               ;   in Loop: Header=BB1_82 Depth=1
	s_cmpk_eq_i32 s81, 0xb1
	s_mov_b64 s[0:1], -1
	s_cbranch_scc0 .LBB1_101
; %bb.100:                              ;   in Loop: Header=BB1_82 Depth=1
	s_add_u32 s8, s36, 0x1000
	s_addc_u32 s9, s37, 0
	s_getpc_b64 s[0:1]
	s_add_u32 s0, s0, _Z45ncclDevFunc_SendRecv_RING_SIMPLE_Sum_i8_0_0_2v@rel32@lo+4
	s_addc_u32 s1, s1, _Z45ncclDevFunc_SendRecv_RING_SIMPLE_Sum_i8_0_0_2v@rel32@hi+12
	s_mov_b64 s[4:5], s[48:49]
	s_mov_b64 s[6:7], s[38:39]
	s_mov_b64 s[10:11], s[34:35]
	s_mov_b32 s12, s55
	s_mov_b32 s13, s54
	s_mov_b32 s14, s33
	v_mov_b32_e32 v31, v40
	s_swappc_b64 s[30:31], s[0:1]
	s_mov_b64 s[0:1], 0
.LBB1_101:                              ;   in Loop: Header=BB1_82 Depth=1
.LBB1_102:                              ;   in Loop: Header=BB1_82 Depth=1
	s_andn2_b64 vcc, exec, s[0:1]
	s_cbranch_vccnz .LBB1_106
.LBB1_103:                              ;   in Loop: Header=BB1_82 Depth=1
	s_add_u32 s8, s36, 0x1000
	s_addc_u32 s9, s37, 0
	s_getpc_b64 s[0:1]
	s_add_u32 s0, s0, _Z50ncclDevFunc_AlltoAllPivot_RING_SIMPLE_Sum_i8_0_0_2v@rel32@lo+4
	s_addc_u32 s1, s1, _Z50ncclDevFunc_AlltoAllPivot_RING_SIMPLE_Sum_i8_0_0_2v@rel32@hi+12
	s_mov_b64 s[4:5], s[48:49]
	s_mov_b64 s[6:7], s[38:39]
	;; [unrolled: 1-line block ×3, first 2 shown]
	s_mov_b32 s12, s55
	s_mov_b32 s13, s54
	;; [unrolled: 1-line block ×3, first 2 shown]
	v_mov_b32_e32 v31, v40
	s_swappc_b64 s[30:31], s[0:1]
	s_cbranch_execz .LBB1_107
	s_branch .LBB1_108
.LBB1_104:                              ;   in Loop: Header=BB1_82 Depth=1
	s_and_b64 vcc, exec, s[2:3]
	s_cbranch_vccz .LBB1_102
; %bb.105:                              ;   in Loop: Header=BB1_82 Depth=1
	s_cmpk_lg_i32 s81, 0xb0
	s_mov_b64 s[66:67], -1
	s_cselect_b64 s[0:1], -1, 0
	s_andn2_b64 vcc, exec, s[0:1]
	s_cbranch_vccz .LBB1_103
.LBB1_106:                              ;   in Loop: Header=BB1_82 Depth=1
	s_andn2_b64 vcc, exec, s[66:67]
	s_cbranch_vccnz .LBB1_108
.LBB1_107:                              ;   in Loop: Header=BB1_82 Depth=1
	s_add_u32 s8, s36, 0x1000
	s_addc_u32 s9, s37, 0
	s_getpc_b64 s[0:1]
	s_add_u32 s0, s0, _Z54ncclDevFunc_AllReduce_RING_SIMPLE_SumPostDiv_u64_1_0_2v@rel32@lo+4
	s_addc_u32 s1, s1, _Z54ncclDevFunc_AllReduce_RING_SIMPLE_SumPostDiv_u64_1_0_2v@rel32@hi+12
	s_mov_b64 s[4:5], s[48:49]
	s_mov_b64 s[6:7], s[38:39]
	;; [unrolled: 1-line block ×3, first 2 shown]
	s_mov_b32 s12, s55
	s_mov_b32 s13, s54
	;; [unrolled: 1-line block ×3, first 2 shown]
	v_mov_b32_e32 v31, v40
	s_swappc_b64 s[30:31], s[0:1]
.LBB1_108:                              ;   in Loop: Header=BB1_82 Depth=1
	s_mov_b64 s[0:1], 0
.LBB1_109:                              ;   in Loop: Header=BB1_82 Depth=1
	s_and_b64 vcc, exec, s[0:1]
	s_cbranch_vccz .LBB1_118
; %bb.110:                              ;   in Loop: Header=BB1_82 Depth=1
	s_sext_i32_i16 s0, s80
	s_cmpk_lt_i32 s0, 0xae
	s_mov_b64 s[0:1], -1
	s_cbranch_scc1 .LBB1_116
; %bb.111:                              ;   in Loop: Header=BB1_82 Depth=1
	s_cmpk_lg_i32 s81, 0xae
	s_cbranch_scc0 .LBB1_113
; %bb.112:                              ;   in Loop: Header=BB1_82 Depth=1
	s_add_u32 s8, s36, 0x1000
	s_addc_u32 s9, s37, 0
	s_getpc_b64 s[0:1]
	s_add_u32 s0, s0, _Z54ncclDevFunc_AllReduce_RING_SIMPLE_SumPostDiv_u64_0_0_2v@rel32@lo+4
	s_addc_u32 s1, s1, _Z54ncclDevFunc_AllReduce_RING_SIMPLE_SumPostDiv_u64_0_0_2v@rel32@hi+12
	s_mov_b64 s[4:5], s[48:49]
	s_mov_b64 s[6:7], s[38:39]
	;; [unrolled: 1-line block ×3, first 2 shown]
	s_mov_b32 s12, s55
	s_mov_b32 s13, s54
	;; [unrolled: 1-line block ×3, first 2 shown]
	v_mov_b32_e32 v31, v40
	s_swappc_b64 s[30:31], s[0:1]
	s_mov_b64 s[0:1], 0
.LBB1_113:                              ;   in Loop: Header=BB1_82 Depth=1
	s_andn2_b64 vcc, exec, s[0:1]
	s_cbranch_vccnz .LBB1_115
; %bb.114:                              ;   in Loop: Header=BB1_82 Depth=1
	s_add_u32 s8, s36, 0x1000
	s_addc_u32 s9, s37, 0
	s_getpc_b64 s[0:1]
	s_add_u32 s0, s0, _Z54ncclDevFunc_AllReduce_RING_SIMPLE_SumPostDiv_u32_1_0_2v@rel32@lo+4
	s_addc_u32 s1, s1, _Z54ncclDevFunc_AllReduce_RING_SIMPLE_SumPostDiv_u32_1_0_2v@rel32@hi+12
	s_mov_b64 s[4:5], s[48:49]
	s_mov_b64 s[6:7], s[38:39]
	;; [unrolled: 1-line block ×3, first 2 shown]
	s_mov_b32 s12, s55
	s_mov_b32 s13, s54
	;; [unrolled: 1-line block ×3, first 2 shown]
	v_mov_b32_e32 v31, v40
	s_swappc_b64 s[30:31], s[0:1]
.LBB1_115:                              ;   in Loop: Header=BB1_82 Depth=1
	s_mov_b64 s[0:1], 0
.LBB1_116:                              ;   in Loop: Header=BB1_82 Depth=1
	s_andn2_b64 vcc, exec, s[0:1]
	s_cbranch_vccnz .LBB1_118
; %bb.117:                              ;   in Loop: Header=BB1_82 Depth=1
	s_add_u32 s8, s36, 0x1000
	s_addc_u32 s9, s37, 0
	s_getpc_b64 s[0:1]
	s_add_u32 s0, s0, _Z54ncclDevFunc_AllReduce_RING_SIMPLE_SumPostDiv_u32_0_0_2v@rel32@lo+4
	s_addc_u32 s1, s1, _Z54ncclDevFunc_AllReduce_RING_SIMPLE_SumPostDiv_u32_0_0_2v@rel32@hi+12
	s_mov_b64 s[4:5], s[48:49]
	s_mov_b64 s[6:7], s[38:39]
	;; [unrolled: 1-line block ×3, first 2 shown]
	s_mov_b32 s12, s55
	s_mov_b32 s13, s54
	;; [unrolled: 1-line block ×3, first 2 shown]
	v_mov_b32_e32 v31, v40
	s_swappc_b64 s[30:31], s[0:1]
.LBB1_118:                              ;   in Loop: Header=BB1_82 Depth=1
	s_mov_b64 s[0:1], 0
.LBB1_119:                              ;   in Loop: Header=BB1_82 Depth=1
	s_andn2_b64 vcc, exec, s[0:1]
	s_cbranch_vccnz .LBB1_139
; %bb.120:                              ;   in Loop: Header=BB1_82 Depth=1
	s_cmpk_gt_u32 s81, 0xa9
	s_mov_b64 s[0:1], -1
	s_cbranch_scc0 .LBB1_130
; %bb.121:                              ;   in Loop: Header=BB1_82 Depth=1
	s_sext_i32_i16 s0, s80
	s_cmpk_lt_i32 s0, 0xab
	s_mov_b64 s[0:1], -1
	s_cbranch_scc1 .LBB1_127
; %bb.122:                              ;   in Loop: Header=BB1_82 Depth=1
	s_cmpk_lg_i32 s81, 0xab
	s_cbranch_scc0 .LBB1_124
; %bb.123:                              ;   in Loop: Header=BB1_82 Depth=1
	s_add_u32 s8, s36, 0x1000
	s_addc_u32 s9, s37, 0
	s_getpc_b64 s[0:1]
	s_add_u32 s0, s0, _Z53ncclDevFunc_AllReduce_RING_SIMPLE_SumPostDiv_u8_1_0_2v@rel32@lo+4
	s_addc_u32 s1, s1, _Z53ncclDevFunc_AllReduce_RING_SIMPLE_SumPostDiv_u8_1_0_2v@rel32@hi+12
	s_mov_b64 s[4:5], s[48:49]
	s_mov_b64 s[6:7], s[38:39]
	;; [unrolled: 1-line block ×3, first 2 shown]
	s_mov_b32 s12, s55
	s_mov_b32 s13, s54
	;; [unrolled: 1-line block ×3, first 2 shown]
	v_mov_b32_e32 v31, v40
	s_swappc_b64 s[30:31], s[0:1]
	s_mov_b64 s[0:1], 0
.LBB1_124:                              ;   in Loop: Header=BB1_82 Depth=1
	s_andn2_b64 vcc, exec, s[0:1]
	s_cbranch_vccnz .LBB1_126
; %bb.125:                              ;   in Loop: Header=BB1_82 Depth=1
	s_add_u32 s8, s36, 0x1000
	s_addc_u32 s9, s37, 0
	s_getpc_b64 s[0:1]
	s_add_u32 s0, s0, _Z53ncclDevFunc_AllReduce_RING_SIMPLE_SumPostDiv_u8_0_0_2v@rel32@lo+4
	s_addc_u32 s1, s1, _Z53ncclDevFunc_AllReduce_RING_SIMPLE_SumPostDiv_u8_0_0_2v@rel32@hi+12
	s_mov_b64 s[4:5], s[48:49]
	s_mov_b64 s[6:7], s[38:39]
	;; [unrolled: 1-line block ×3, first 2 shown]
	s_mov_b32 s12, s55
	s_mov_b32 s13, s54
	s_mov_b32 s14, s33
	v_mov_b32_e32 v31, v40
	s_swappc_b64 s[30:31], s[0:1]
.LBB1_126:                              ;   in Loop: Header=BB1_82 Depth=1
	s_mov_b64 s[0:1], 0
.LBB1_127:                              ;   in Loop: Header=BB1_82 Depth=1
	s_andn2_b64 vcc, exec, s[0:1]
	s_cbranch_vccnz .LBB1_129
; %bb.128:                              ;   in Loop: Header=BB1_82 Depth=1
	s_add_u32 s8, s36, 0x1000
	s_addc_u32 s9, s37, 0
	s_getpc_b64 s[0:1]
	s_add_u32 s0, s0, _Z56ncclDevFunc_AllReduce_RING_SIMPLE_PreMulSum_f8e5m2_1_0_2v@rel32@lo+4
	s_addc_u32 s1, s1, _Z56ncclDevFunc_AllReduce_RING_SIMPLE_PreMulSum_f8e5m2_1_0_2v@rel32@hi+12
	s_mov_b64 s[4:5], s[48:49]
	s_mov_b64 s[6:7], s[38:39]
	s_mov_b64 s[10:11], s[34:35]
	s_mov_b32 s12, s55
	s_mov_b32 s13, s54
	;; [unrolled: 1-line block ×3, first 2 shown]
	v_mov_b32_e32 v31, v40
	s_swappc_b64 s[30:31], s[0:1]
.LBB1_129:                              ;   in Loop: Header=BB1_82 Depth=1
	s_mov_b64 s[0:1], 0
.LBB1_130:                              ;   in Loop: Header=BB1_82 Depth=1
	s_and_b64 vcc, exec, s[0:1]
	s_cbranch_vccz .LBB1_139
; %bb.131:                              ;   in Loop: Header=BB1_82 Depth=1
	s_sext_i32_i16 s0, s80
	s_cmpk_lt_i32 s0, 0xa8
	s_mov_b64 s[0:1], -1
	s_cbranch_scc1 .LBB1_137
; %bb.132:                              ;   in Loop: Header=BB1_82 Depth=1
	s_cmpk_lg_i32 s81, 0xa8
	s_cbranch_scc0 .LBB1_134
; %bb.133:                              ;   in Loop: Header=BB1_82 Depth=1
	s_add_u32 s8, s36, 0x1000
	s_addc_u32 s9, s37, 0
	s_getpc_b64 s[0:1]
	s_add_u32 s0, s0, _Z56ncclDevFunc_AllReduce_RING_SIMPLE_PreMulSum_f8e5m2_0_0_2v@rel32@lo+4
	s_addc_u32 s1, s1, _Z56ncclDevFunc_AllReduce_RING_SIMPLE_PreMulSum_f8e5m2_0_0_2v@rel32@hi+12
	s_mov_b64 s[4:5], s[48:49]
	s_mov_b64 s[6:7], s[38:39]
	;; [unrolled: 1-line block ×3, first 2 shown]
	s_mov_b32 s12, s55
	s_mov_b32 s13, s54
	;; [unrolled: 1-line block ×3, first 2 shown]
	v_mov_b32_e32 v31, v40
	s_swappc_b64 s[30:31], s[0:1]
	s_mov_b64 s[0:1], 0
.LBB1_134:                              ;   in Loop: Header=BB1_82 Depth=1
	s_andn2_b64 vcc, exec, s[0:1]
	s_cbranch_vccnz .LBB1_136
; %bb.135:                              ;   in Loop: Header=BB1_82 Depth=1
	s_add_u32 s8, s36, 0x1000
	s_addc_u32 s9, s37, 0
	s_getpc_b64 s[0:1]
	s_add_u32 s0, s0, _Z56ncclDevFunc_AllReduce_RING_SIMPLE_PreMulSum_f8e4m3_1_0_2v@rel32@lo+4
	s_addc_u32 s1, s1, _Z56ncclDevFunc_AllReduce_RING_SIMPLE_PreMulSum_f8e4m3_1_0_2v@rel32@hi+12
	s_mov_b64 s[4:5], s[48:49]
	s_mov_b64 s[6:7], s[38:39]
	;; [unrolled: 1-line block ×3, first 2 shown]
	s_mov_b32 s12, s55
	s_mov_b32 s13, s54
	;; [unrolled: 1-line block ×3, first 2 shown]
	v_mov_b32_e32 v31, v40
	s_swappc_b64 s[30:31], s[0:1]
.LBB1_136:                              ;   in Loop: Header=BB1_82 Depth=1
	s_mov_b64 s[0:1], 0
.LBB1_137:                              ;   in Loop: Header=BB1_82 Depth=1
	s_andn2_b64 vcc, exec, s[0:1]
	s_cbranch_vccnz .LBB1_139
; %bb.138:                              ;   in Loop: Header=BB1_82 Depth=1
	s_add_u32 s8, s36, 0x1000
	s_addc_u32 s9, s37, 0
	s_getpc_b64 s[0:1]
	s_add_u32 s0, s0, _Z56ncclDevFunc_AllReduce_RING_SIMPLE_PreMulSum_f8e4m3_0_0_2v@rel32@lo+4
	s_addc_u32 s1, s1, _Z56ncclDevFunc_AllReduce_RING_SIMPLE_PreMulSum_f8e4m3_0_0_2v@rel32@hi+12
	s_mov_b64 s[4:5], s[48:49]
	s_mov_b64 s[6:7], s[38:39]
	;; [unrolled: 1-line block ×3, first 2 shown]
	s_mov_b32 s12, s55
	s_mov_b32 s13, s54
	;; [unrolled: 1-line block ×3, first 2 shown]
	v_mov_b32_e32 v31, v40
	s_swappc_b64 s[30:31], s[0:1]
.LBB1_139:                              ;   in Loop: Header=BB1_82 Depth=1
	s_mov_b64 s[0:1], 0
.LBB1_140:                              ;   in Loop: Header=BB1_82 Depth=1
	s_andn2_b64 vcc, exec, s[0:1]
	s_cbranch_vccnz .LBB1_178
; %bb.141:                              ;   in Loop: Header=BB1_82 Depth=1
	s_cmpk_gt_u32 s81, 0xa0
	s_mov_b64 s[0:1], -1
	s_cbranch_scc0 .LBB1_162
; %bb.142:                              ;   in Loop: Header=BB1_82 Depth=1
	s_cmpk_gt_u32 s81, 0xa3
	s_cbranch_scc0 .LBB1_152
; %bb.143:                              ;   in Loop: Header=BB1_82 Depth=1
	s_sext_i32_i16 s0, s80
	s_cmpk_lt_i32 s0, 0xa5
	s_mov_b64 s[0:1], -1
	s_cbranch_scc1 .LBB1_149
; %bb.144:                              ;   in Loop: Header=BB1_82 Depth=1
	s_cmpk_lg_i32 s81, 0xa5
	s_cbranch_scc0 .LBB1_146
; %bb.145:                              ;   in Loop: Header=BB1_82 Depth=1
	s_add_u32 s8, s36, 0x1000
	s_addc_u32 s9, s37, 0
	s_getpc_b64 s[0:1]
	s_add_u32 s0, s0, _Z54ncclDevFunc_AllReduce_RING_SIMPLE_PreMulSum_bf16_1_1_2v@rel32@lo+4
	s_addc_u32 s1, s1, _Z54ncclDevFunc_AllReduce_RING_SIMPLE_PreMulSum_bf16_1_1_2v@rel32@hi+12
	s_mov_b64 s[4:5], s[48:49]
	s_mov_b64 s[6:7], s[38:39]
	;; [unrolled: 1-line block ×3, first 2 shown]
	s_mov_b32 s12, s55
	s_mov_b32 s13, s54
	;; [unrolled: 1-line block ×3, first 2 shown]
	v_mov_b32_e32 v31, v40
	s_swappc_b64 s[30:31], s[0:1]
	s_mov_b64 s[0:1], 0
.LBB1_146:                              ;   in Loop: Header=BB1_82 Depth=1
	s_andn2_b64 vcc, exec, s[0:1]
	s_cbranch_vccnz .LBB1_148
; %bb.147:                              ;   in Loop: Header=BB1_82 Depth=1
	s_add_u32 s8, s36, 0x1000
	s_addc_u32 s9, s37, 0
	s_getpc_b64 s[0:1]
	s_add_u32 s0, s0, _Z54ncclDevFunc_AllReduce_RING_SIMPLE_PreMulSum_bf16_1_0_2v@rel32@lo+4
	s_addc_u32 s1, s1, _Z54ncclDevFunc_AllReduce_RING_SIMPLE_PreMulSum_bf16_1_0_2v@rel32@hi+12
	s_mov_b64 s[4:5], s[48:49]
	s_mov_b64 s[6:7], s[38:39]
	;; [unrolled: 1-line block ×3, first 2 shown]
	s_mov_b32 s12, s55
	s_mov_b32 s13, s54
	;; [unrolled: 1-line block ×3, first 2 shown]
	v_mov_b32_e32 v31, v40
	s_swappc_b64 s[30:31], s[0:1]
.LBB1_148:                              ;   in Loop: Header=BB1_82 Depth=1
	s_mov_b64 s[0:1], 0
.LBB1_149:                              ;   in Loop: Header=BB1_82 Depth=1
	s_andn2_b64 vcc, exec, s[0:1]
	s_cbranch_vccnz .LBB1_151
; %bb.150:                              ;   in Loop: Header=BB1_82 Depth=1
	s_add_u32 s8, s36, 0x1000
	s_addc_u32 s9, s37, 0
	s_getpc_b64 s[0:1]
	s_add_u32 s0, s0, _Z54ncclDevFunc_AllReduce_RING_SIMPLE_PreMulSum_bf16_0_1_2v@rel32@lo+4
	s_addc_u32 s1, s1, _Z54ncclDevFunc_AllReduce_RING_SIMPLE_PreMulSum_bf16_0_1_2v@rel32@hi+12
	s_mov_b64 s[4:5], s[48:49]
	s_mov_b64 s[6:7], s[38:39]
	;; [unrolled: 1-line block ×3, first 2 shown]
	s_mov_b32 s12, s55
	s_mov_b32 s13, s54
	s_mov_b32 s14, s33
	v_mov_b32_e32 v31, v40
	s_swappc_b64 s[30:31], s[0:1]
.LBB1_151:                              ;   in Loop: Header=BB1_82 Depth=1
	s_mov_b64 s[0:1], 0
.LBB1_152:                              ;   in Loop: Header=BB1_82 Depth=1
	s_and_b64 vcc, exec, s[0:1]
	s_cbranch_vccz .LBB1_161
; %bb.153:                              ;   in Loop: Header=BB1_82 Depth=1
	s_sext_i32_i16 s0, s80
	s_cmpk_lt_i32 s0, 0xa2
	s_mov_b64 s[0:1], -1
	s_cbranch_scc1 .LBB1_159
; %bb.154:                              ;   in Loop: Header=BB1_82 Depth=1
	s_cmpk_lg_i32 s81, 0xa2
	s_cbranch_scc0 .LBB1_156
; %bb.155:                              ;   in Loop: Header=BB1_82 Depth=1
	s_add_u32 s8, s36, 0x1000
	s_addc_u32 s9, s37, 0
	s_getpc_b64 s[0:1]
	s_add_u32 s0, s0, _Z54ncclDevFunc_AllReduce_RING_SIMPLE_PreMulSum_bf16_0_0_2v@rel32@lo+4
	s_addc_u32 s1, s1, _Z54ncclDevFunc_AllReduce_RING_SIMPLE_PreMulSum_bf16_0_0_2v@rel32@hi+12
	s_mov_b64 s[4:5], s[48:49]
	s_mov_b64 s[6:7], s[38:39]
	;; [unrolled: 1-line block ×3, first 2 shown]
	s_mov_b32 s12, s55
	s_mov_b32 s13, s54
	;; [unrolled: 1-line block ×3, first 2 shown]
	v_mov_b32_e32 v31, v40
	s_swappc_b64 s[30:31], s[0:1]
	s_mov_b64 s[0:1], 0
.LBB1_156:                              ;   in Loop: Header=BB1_82 Depth=1
	s_andn2_b64 vcc, exec, s[0:1]
	s_cbranch_vccnz .LBB1_158
; %bb.157:                              ;   in Loop: Header=BB1_82 Depth=1
	s_add_u32 s8, s36, 0x1000
	s_addc_u32 s9, s37, 0
	s_getpc_b64 s[0:1]
	s_add_u32 s0, s0, _Z53ncclDevFunc_AllReduce_RING_SIMPLE_PreMulSum_f64_1_0_2v@rel32@lo+4
	s_addc_u32 s1, s1, _Z53ncclDevFunc_AllReduce_RING_SIMPLE_PreMulSum_f64_1_0_2v@rel32@hi+12
	s_mov_b64 s[4:5], s[48:49]
	s_mov_b64 s[6:7], s[38:39]
	;; [unrolled: 1-line block ×3, first 2 shown]
	s_mov_b32 s12, s55
	s_mov_b32 s13, s54
	;; [unrolled: 1-line block ×3, first 2 shown]
	v_mov_b32_e32 v31, v40
	s_swappc_b64 s[30:31], s[0:1]
.LBB1_158:                              ;   in Loop: Header=BB1_82 Depth=1
	s_mov_b64 s[0:1], 0
.LBB1_159:                              ;   in Loop: Header=BB1_82 Depth=1
	s_andn2_b64 vcc, exec, s[0:1]
	s_cbranch_vccnz .LBB1_161
; %bb.160:                              ;   in Loop: Header=BB1_82 Depth=1
	s_add_u32 s8, s36, 0x1000
	s_addc_u32 s9, s37, 0
	s_getpc_b64 s[0:1]
	s_add_u32 s0, s0, _Z53ncclDevFunc_AllReduce_RING_SIMPLE_PreMulSum_f64_0_0_2v@rel32@lo+4
	s_addc_u32 s1, s1, _Z53ncclDevFunc_AllReduce_RING_SIMPLE_PreMulSum_f64_0_0_2v@rel32@hi+12
	s_mov_b64 s[4:5], s[48:49]
	s_mov_b64 s[6:7], s[38:39]
	s_mov_b64 s[10:11], s[34:35]
	s_mov_b32 s12, s55
	s_mov_b32 s13, s54
	;; [unrolled: 1-line block ×3, first 2 shown]
	v_mov_b32_e32 v31, v40
	s_swappc_b64 s[30:31], s[0:1]
.LBB1_161:                              ;   in Loop: Header=BB1_82 Depth=1
	s_mov_b64 s[0:1], 0
.LBB1_162:                              ;   in Loop: Header=BB1_82 Depth=1
	s_andn2_b64 vcc, exec, s[0:1]
	s_cbranch_vccnz .LBB1_178
; %bb.163:                              ;   in Loop: Header=BB1_82 Depth=1
	s_cmpk_gt_u32 s81, 0x9d
	s_mov_b64 s[0:1], -1
	s_cbranch_scc0 .LBB1_173
; %bb.164:                              ;   in Loop: Header=BB1_82 Depth=1
	s_sext_i32_i16 s0, s80
	s_cmpk_lt_i32 s0, 0x9f
	s_mov_b64 s[0:1], -1
	s_cbranch_scc1 .LBB1_170
; %bb.165:                              ;   in Loop: Header=BB1_82 Depth=1
	s_cmpk_lg_i32 s81, 0x9f
	s_cbranch_scc0 .LBB1_167
; %bb.166:                              ;   in Loop: Header=BB1_82 Depth=1
	s_add_u32 s8, s36, 0x1000
	s_addc_u32 s9, s37, 0
	s_getpc_b64 s[0:1]
	s_add_u32 s0, s0, _Z53ncclDevFunc_AllReduce_RING_SIMPLE_PreMulSum_f32_1_0_2v@rel32@lo+4
	s_addc_u32 s1, s1, _Z53ncclDevFunc_AllReduce_RING_SIMPLE_PreMulSum_f32_1_0_2v@rel32@hi+12
	s_mov_b64 s[4:5], s[48:49]
	s_mov_b64 s[6:7], s[38:39]
	;; [unrolled: 1-line block ×3, first 2 shown]
	s_mov_b32 s12, s55
	s_mov_b32 s13, s54
	;; [unrolled: 1-line block ×3, first 2 shown]
	v_mov_b32_e32 v31, v40
	s_swappc_b64 s[30:31], s[0:1]
	s_mov_b64 s[0:1], 0
.LBB1_167:                              ;   in Loop: Header=BB1_82 Depth=1
	s_andn2_b64 vcc, exec, s[0:1]
	s_cbranch_vccnz .LBB1_169
; %bb.168:                              ;   in Loop: Header=BB1_82 Depth=1
	s_add_u32 s8, s36, 0x1000
	s_addc_u32 s9, s37, 0
	s_getpc_b64 s[0:1]
	s_add_u32 s0, s0, _Z53ncclDevFunc_AllReduce_RING_SIMPLE_PreMulSum_f32_0_0_2v@rel32@lo+4
	s_addc_u32 s1, s1, _Z53ncclDevFunc_AllReduce_RING_SIMPLE_PreMulSum_f32_0_0_2v@rel32@hi+12
	s_mov_b64 s[4:5], s[48:49]
	s_mov_b64 s[6:7], s[38:39]
	;; [unrolled: 1-line block ×3, first 2 shown]
	s_mov_b32 s12, s55
	s_mov_b32 s13, s54
	;; [unrolled: 1-line block ×3, first 2 shown]
	v_mov_b32_e32 v31, v40
	s_swappc_b64 s[30:31], s[0:1]
.LBB1_169:                              ;   in Loop: Header=BB1_82 Depth=1
	s_mov_b64 s[0:1], 0
.LBB1_170:                              ;   in Loop: Header=BB1_82 Depth=1
	s_andn2_b64 vcc, exec, s[0:1]
	s_cbranch_vccnz .LBB1_172
; %bb.171:                              ;   in Loop: Header=BB1_82 Depth=1
	s_add_u32 s8, s36, 0x1000
	s_addc_u32 s9, s37, 0
	s_getpc_b64 s[0:1]
	s_add_u32 s0, s0, _Z53ncclDevFunc_AllReduce_RING_SIMPLE_PreMulSum_f16_1_0_2v@rel32@lo+4
	s_addc_u32 s1, s1, _Z53ncclDevFunc_AllReduce_RING_SIMPLE_PreMulSum_f16_1_0_2v@rel32@hi+12
	s_mov_b64 s[4:5], s[48:49]
	s_mov_b64 s[6:7], s[38:39]
	;; [unrolled: 1-line block ×3, first 2 shown]
	s_mov_b32 s12, s55
	s_mov_b32 s13, s54
	;; [unrolled: 1-line block ×3, first 2 shown]
	v_mov_b32_e32 v31, v40
	s_swappc_b64 s[30:31], s[0:1]
.LBB1_172:                              ;   in Loop: Header=BB1_82 Depth=1
	s_mov_b64 s[0:1], 0
.LBB1_173:                              ;   in Loop: Header=BB1_82 Depth=1
	s_and_b64 vcc, exec, s[0:1]
	s_cbranch_vccz .LBB1_178
; %bb.174:                              ;   in Loop: Header=BB1_82 Depth=1
	s_cmpk_eq_i32 s81, 0x9d
	s_mov_b64 s[0:1], -1
	s_cbranch_scc1 .LBB1_176
; %bb.175:                              ;   in Loop: Header=BB1_82 Depth=1
	s_add_u32 s8, s36, 0x1000
	s_addc_u32 s9, s37, 0
	s_getpc_b64 s[0:1]
	s_add_u32 s0, s0, _Z53ncclDevFunc_AllReduce_RING_SIMPLE_PreMulSum_u64_1_0_2v@rel32@lo+4
	s_addc_u32 s1, s1, _Z53ncclDevFunc_AllReduce_RING_SIMPLE_PreMulSum_u64_1_0_2v@rel32@hi+12
	s_mov_b64 s[4:5], s[48:49]
	s_mov_b64 s[6:7], s[38:39]
	;; [unrolled: 1-line block ×3, first 2 shown]
	s_mov_b32 s12, s55
	s_mov_b32 s13, s54
	;; [unrolled: 1-line block ×3, first 2 shown]
	v_mov_b32_e32 v31, v40
	s_swappc_b64 s[30:31], s[0:1]
	s_mov_b64 s[0:1], 0
.LBB1_176:                              ;   in Loop: Header=BB1_82 Depth=1
	s_andn2_b64 vcc, exec, s[0:1]
	s_cbranch_vccnz .LBB1_178
; %bb.177:                              ;   in Loop: Header=BB1_82 Depth=1
	s_add_u32 s8, s36, 0x1000
	s_addc_u32 s9, s37, 0
	s_getpc_b64 s[0:1]
	s_add_u32 s0, s0, _Z53ncclDevFunc_AllReduce_RING_SIMPLE_PreMulSum_f16_0_0_2v@rel32@lo+4
	s_addc_u32 s1, s1, _Z53ncclDevFunc_AllReduce_RING_SIMPLE_PreMulSum_f16_0_0_2v@rel32@hi+12
	s_mov_b64 s[4:5], s[48:49]
	s_mov_b64 s[6:7], s[38:39]
	;; [unrolled: 1-line block ×3, first 2 shown]
	s_mov_b32 s12, s55
	s_mov_b32 s13, s54
	s_mov_b32 s14, s33
	v_mov_b32_e32 v31, v40
	s_swappc_b64 s[30:31], s[0:1]
.LBB1_178:                              ;   in Loop: Header=BB1_82 Depth=1
	s_mov_b64 s[0:1], 0
.LBB1_179:                              ;   in Loop: Header=BB1_82 Depth=1
	s_andn2_b64 vcc, exec, s[0:1]
	s_cbranch_vccnz .LBB1_257
; %bb.180:                              ;   in Loop: Header=BB1_82 Depth=1
	s_cmpk_gt_u32 s81, 0x90
	s_mov_b64 s[0:1], -1
	s_cbranch_scc0 .LBB1_219
; %bb.181:                              ;   in Loop: Header=BB1_82 Depth=1
	s_cmpk_gt_u32 s81, 0x95
	s_cbranch_scc0 .LBB1_202
; %bb.182:                              ;   in Loop: Header=BB1_82 Depth=1
	s_cmpk_gt_u32 s81, 0x98
	s_cbranch_scc0 .LBB1_192
; %bb.183:                              ;   in Loop: Header=BB1_82 Depth=1
	s_sext_i32_i16 s0, s80
	s_cmpk_lt_i32 s0, 0x9a
	s_mov_b64 s[0:1], -1
	s_cbranch_scc1 .LBB1_189
; %bb.184:                              ;   in Loop: Header=BB1_82 Depth=1
	s_cmpk_lg_i32 s81, 0x9a
	s_cbranch_scc0 .LBB1_186
; %bb.185:                              ;   in Loop: Header=BB1_82 Depth=1
	s_add_u32 s8, s36, 0x1000
	s_addc_u32 s9, s37, 0
	s_getpc_b64 s[0:1]
	s_add_u32 s0, s0, _Z53ncclDevFunc_AllReduce_RING_SIMPLE_PreMulSum_u64_0_0_2v@rel32@lo+4
	s_addc_u32 s1, s1, _Z53ncclDevFunc_AllReduce_RING_SIMPLE_PreMulSum_u64_0_0_2v@rel32@hi+12
	s_mov_b64 s[4:5], s[48:49]
	s_mov_b64 s[6:7], s[38:39]
	;; [unrolled: 1-line block ×3, first 2 shown]
	s_mov_b32 s12, s55
	s_mov_b32 s13, s54
	;; [unrolled: 1-line block ×3, first 2 shown]
	v_mov_b32_e32 v31, v40
	s_swappc_b64 s[30:31], s[0:1]
	s_mov_b64 s[0:1], 0
.LBB1_186:                              ;   in Loop: Header=BB1_82 Depth=1
	s_andn2_b64 vcc, exec, s[0:1]
	s_cbranch_vccnz .LBB1_188
; %bb.187:                              ;   in Loop: Header=BB1_82 Depth=1
	s_add_u32 s8, s36, 0x1000
	s_addc_u32 s9, s37, 0
	s_getpc_b64 s[0:1]
	s_add_u32 s0, s0, _Z53ncclDevFunc_AllReduce_RING_SIMPLE_PreMulSum_u32_1_0_2v@rel32@lo+4
	s_addc_u32 s1, s1, _Z53ncclDevFunc_AllReduce_RING_SIMPLE_PreMulSum_u32_1_0_2v@rel32@hi+12
	s_mov_b64 s[4:5], s[48:49]
	s_mov_b64 s[6:7], s[38:39]
	;; [unrolled: 1-line block ×3, first 2 shown]
	s_mov_b32 s12, s55
	s_mov_b32 s13, s54
	;; [unrolled: 1-line block ×3, first 2 shown]
	v_mov_b32_e32 v31, v40
	s_swappc_b64 s[30:31], s[0:1]
.LBB1_188:                              ;   in Loop: Header=BB1_82 Depth=1
	s_mov_b64 s[0:1], 0
.LBB1_189:                              ;   in Loop: Header=BB1_82 Depth=1
	s_andn2_b64 vcc, exec, s[0:1]
	s_cbranch_vccnz .LBB1_191
; %bb.190:                              ;   in Loop: Header=BB1_82 Depth=1
	s_add_u32 s8, s36, 0x1000
	s_addc_u32 s9, s37, 0
	s_getpc_b64 s[0:1]
	s_add_u32 s0, s0, _Z53ncclDevFunc_AllReduce_RING_SIMPLE_PreMulSum_u32_0_0_2v@rel32@lo+4
	s_addc_u32 s1, s1, _Z53ncclDevFunc_AllReduce_RING_SIMPLE_PreMulSum_u32_0_0_2v@rel32@hi+12
	s_mov_b64 s[4:5], s[48:49]
	s_mov_b64 s[6:7], s[38:39]
	;; [unrolled: 1-line block ×3, first 2 shown]
	s_mov_b32 s12, s55
	s_mov_b32 s13, s54
	;; [unrolled: 1-line block ×3, first 2 shown]
	v_mov_b32_e32 v31, v40
	s_swappc_b64 s[30:31], s[0:1]
.LBB1_191:                              ;   in Loop: Header=BB1_82 Depth=1
	s_mov_b64 s[0:1], 0
.LBB1_192:                              ;   in Loop: Header=BB1_82 Depth=1
	s_and_b64 vcc, exec, s[0:1]
	s_cbranch_vccz .LBB1_201
; %bb.193:                              ;   in Loop: Header=BB1_82 Depth=1
	s_sext_i32_i16 s0, s80
	s_cmpk_lt_i32 s0, 0x97
	s_mov_b64 s[0:1], -1
	s_cbranch_scc1 .LBB1_199
; %bb.194:                              ;   in Loop: Header=BB1_82 Depth=1
	s_cmpk_lg_i32 s81, 0x97
	s_cbranch_scc0 .LBB1_196
; %bb.195:                              ;   in Loop: Header=BB1_82 Depth=1
	s_add_u32 s8, s36, 0x1000
	s_addc_u32 s9, s37, 0
	s_getpc_b64 s[0:1]
	s_add_u32 s0, s0, _Z52ncclDevFunc_AllReduce_RING_SIMPLE_PreMulSum_u8_1_0_2v@rel32@lo+4
	s_addc_u32 s1, s1, _Z52ncclDevFunc_AllReduce_RING_SIMPLE_PreMulSum_u8_1_0_2v@rel32@hi+12
	s_mov_b64 s[4:5], s[48:49]
	s_mov_b64 s[6:7], s[38:39]
	;; [unrolled: 1-line block ×3, first 2 shown]
	s_mov_b32 s12, s55
	s_mov_b32 s13, s54
	;; [unrolled: 1-line block ×3, first 2 shown]
	v_mov_b32_e32 v31, v40
	s_swappc_b64 s[30:31], s[0:1]
	s_mov_b64 s[0:1], 0
.LBB1_196:                              ;   in Loop: Header=BB1_82 Depth=1
	s_andn2_b64 vcc, exec, s[0:1]
	s_cbranch_vccnz .LBB1_198
; %bb.197:                              ;   in Loop: Header=BB1_82 Depth=1
	s_add_u32 s8, s36, 0x1000
	s_addc_u32 s9, s37, 0
	s_getpc_b64 s[0:1]
	s_add_u32 s0, s0, _Z52ncclDevFunc_AllReduce_RING_SIMPLE_PreMulSum_u8_0_0_2v@rel32@lo+4
	s_addc_u32 s1, s1, _Z52ncclDevFunc_AllReduce_RING_SIMPLE_PreMulSum_u8_0_0_2v@rel32@hi+12
	s_mov_b64 s[4:5], s[48:49]
	s_mov_b64 s[6:7], s[38:39]
	;; [unrolled: 1-line block ×3, first 2 shown]
	s_mov_b32 s12, s55
	s_mov_b32 s13, s54
	;; [unrolled: 1-line block ×3, first 2 shown]
	v_mov_b32_e32 v31, v40
	s_swappc_b64 s[30:31], s[0:1]
.LBB1_198:                              ;   in Loop: Header=BB1_82 Depth=1
	s_mov_b64 s[0:1], 0
.LBB1_199:                              ;   in Loop: Header=BB1_82 Depth=1
	s_andn2_b64 vcc, exec, s[0:1]
	s_cbranch_vccnz .LBB1_201
; %bb.200:                              ;   in Loop: Header=BB1_82 Depth=1
	s_add_u32 s8, s36, 0x1000
	s_addc_u32 s9, s37, 0
	s_getpc_b64 s[0:1]
	s_add_u32 s0, s0, _Z53ncclDevFunc_AllReduce_RING_SIMPLE_MinMax_f8e5m2_1_0_2v@rel32@lo+4
	s_addc_u32 s1, s1, _Z53ncclDevFunc_AllReduce_RING_SIMPLE_MinMax_f8e5m2_1_0_2v@rel32@hi+12
	s_mov_b64 s[4:5], s[48:49]
	s_mov_b64 s[6:7], s[38:39]
	;; [unrolled: 1-line block ×3, first 2 shown]
	s_mov_b32 s12, s55
	s_mov_b32 s13, s54
	;; [unrolled: 1-line block ×3, first 2 shown]
	v_mov_b32_e32 v31, v40
	s_swappc_b64 s[30:31], s[0:1]
.LBB1_201:                              ;   in Loop: Header=BB1_82 Depth=1
	s_mov_b64 s[0:1], 0
.LBB1_202:                              ;   in Loop: Header=BB1_82 Depth=1
	s_andn2_b64 vcc, exec, s[0:1]
	s_cbranch_vccnz .LBB1_218
; %bb.203:                              ;   in Loop: Header=BB1_82 Depth=1
	s_cmpk_gt_u32 s81, 0x92
	s_mov_b64 s[0:1], -1
	s_cbranch_scc0 .LBB1_213
; %bb.204:                              ;   in Loop: Header=BB1_82 Depth=1
	s_sext_i32_i16 s0, s80
	s_cmpk_lt_i32 s0, 0x94
	s_mov_b64 s[0:1], -1
	s_cbranch_scc1 .LBB1_210
; %bb.205:                              ;   in Loop: Header=BB1_82 Depth=1
	s_cmpk_lg_i32 s81, 0x94
	s_cbranch_scc0 .LBB1_207
; %bb.206:                              ;   in Loop: Header=BB1_82 Depth=1
	s_add_u32 s8, s36, 0x1000
	s_addc_u32 s9, s37, 0
	s_getpc_b64 s[0:1]
	s_add_u32 s0, s0, _Z53ncclDevFunc_AllReduce_RING_SIMPLE_MinMax_f8e5m2_0_0_2v@rel32@lo+4
	s_addc_u32 s1, s1, _Z53ncclDevFunc_AllReduce_RING_SIMPLE_MinMax_f8e5m2_0_0_2v@rel32@hi+12
	s_mov_b64 s[4:5], s[48:49]
	s_mov_b64 s[6:7], s[38:39]
	;; [unrolled: 1-line block ×3, first 2 shown]
	s_mov_b32 s12, s55
	s_mov_b32 s13, s54
	;; [unrolled: 1-line block ×3, first 2 shown]
	v_mov_b32_e32 v31, v40
	s_swappc_b64 s[30:31], s[0:1]
	s_mov_b64 s[0:1], 0
.LBB1_207:                              ;   in Loop: Header=BB1_82 Depth=1
	s_andn2_b64 vcc, exec, s[0:1]
	s_cbranch_vccnz .LBB1_209
; %bb.208:                              ;   in Loop: Header=BB1_82 Depth=1
	s_add_u32 s8, s36, 0x1000
	s_addc_u32 s9, s37, 0
	s_getpc_b64 s[0:1]
	s_add_u32 s0, s0, _Z53ncclDevFunc_AllReduce_RING_SIMPLE_MinMax_f8e4m3_1_0_2v@rel32@lo+4
	s_addc_u32 s1, s1, _Z53ncclDevFunc_AllReduce_RING_SIMPLE_MinMax_f8e4m3_1_0_2v@rel32@hi+12
	s_mov_b64 s[4:5], s[48:49]
	s_mov_b64 s[6:7], s[38:39]
	;; [unrolled: 1-line block ×3, first 2 shown]
	s_mov_b32 s12, s55
	s_mov_b32 s13, s54
	;; [unrolled: 1-line block ×3, first 2 shown]
	v_mov_b32_e32 v31, v40
	s_swappc_b64 s[30:31], s[0:1]
.LBB1_209:                              ;   in Loop: Header=BB1_82 Depth=1
	s_mov_b64 s[0:1], 0
.LBB1_210:                              ;   in Loop: Header=BB1_82 Depth=1
	s_andn2_b64 vcc, exec, s[0:1]
	s_cbranch_vccnz .LBB1_212
; %bb.211:                              ;   in Loop: Header=BB1_82 Depth=1
	s_add_u32 s8, s36, 0x1000
	s_addc_u32 s9, s37, 0
	s_getpc_b64 s[0:1]
	s_add_u32 s0, s0, _Z53ncclDevFunc_AllReduce_RING_SIMPLE_MinMax_f8e4m3_0_0_2v@rel32@lo+4
	s_addc_u32 s1, s1, _Z53ncclDevFunc_AllReduce_RING_SIMPLE_MinMax_f8e4m3_0_0_2v@rel32@hi+12
	s_mov_b64 s[4:5], s[48:49]
	s_mov_b64 s[6:7], s[38:39]
	;; [unrolled: 1-line block ×3, first 2 shown]
	s_mov_b32 s12, s55
	s_mov_b32 s13, s54
	;; [unrolled: 1-line block ×3, first 2 shown]
	v_mov_b32_e32 v31, v40
	s_swappc_b64 s[30:31], s[0:1]
.LBB1_212:                              ;   in Loop: Header=BB1_82 Depth=1
	s_mov_b64 s[0:1], 0
.LBB1_213:                              ;   in Loop: Header=BB1_82 Depth=1
	s_and_b64 vcc, exec, s[0:1]
	s_cbranch_vccz .LBB1_218
; %bb.214:                              ;   in Loop: Header=BB1_82 Depth=1
	s_cmpk_eq_i32 s81, 0x92
	s_mov_b64 s[0:1], -1
	s_cbranch_scc1 .LBB1_216
; %bb.215:                              ;   in Loop: Header=BB1_82 Depth=1
	s_add_u32 s8, s36, 0x1000
	s_addc_u32 s9, s37, 0
	s_getpc_b64 s[0:1]
	s_add_u32 s0, s0, _Z51ncclDevFunc_AllReduce_RING_SIMPLE_MinMax_bf16_1_0_2v@rel32@lo+4
	s_addc_u32 s1, s1, _Z51ncclDevFunc_AllReduce_RING_SIMPLE_MinMax_bf16_1_0_2v@rel32@hi+12
	s_mov_b64 s[4:5], s[48:49]
	s_mov_b64 s[6:7], s[38:39]
	;; [unrolled: 1-line block ×3, first 2 shown]
	s_mov_b32 s12, s55
	s_mov_b32 s13, s54
	;; [unrolled: 1-line block ×3, first 2 shown]
	v_mov_b32_e32 v31, v40
	s_swappc_b64 s[30:31], s[0:1]
	s_mov_b64 s[0:1], 0
.LBB1_216:                              ;   in Loop: Header=BB1_82 Depth=1
	s_andn2_b64 vcc, exec, s[0:1]
	s_cbranch_vccnz .LBB1_218
; %bb.217:                              ;   in Loop: Header=BB1_82 Depth=1
	s_add_u32 s8, s36, 0x1000
	s_addc_u32 s9, s37, 0
	s_getpc_b64 s[0:1]
	s_add_u32 s0, s0, _Z51ncclDevFunc_AllReduce_RING_SIMPLE_MinMax_bf16_1_1_2v@rel32@lo+4
	s_addc_u32 s1, s1, _Z51ncclDevFunc_AllReduce_RING_SIMPLE_MinMax_bf16_1_1_2v@rel32@hi+12
	s_mov_b64 s[4:5], s[48:49]
	s_mov_b64 s[6:7], s[38:39]
	;; [unrolled: 1-line block ×3, first 2 shown]
	s_mov_b32 s12, s55
	s_mov_b32 s13, s54
	;; [unrolled: 1-line block ×3, first 2 shown]
	v_mov_b32_e32 v31, v40
	s_swappc_b64 s[30:31], s[0:1]
.LBB1_218:                              ;   in Loop: Header=BB1_82 Depth=1
	s_mov_b64 s[0:1], 0
.LBB1_219:                              ;   in Loop: Header=BB1_82 Depth=1
	s_andn2_b64 vcc, exec, s[0:1]
	s_cbranch_vccnz .LBB1_257
; %bb.220:                              ;   in Loop: Header=BB1_82 Depth=1
	s_cmpk_gt_u32 s81, 0x8a
	s_mov_b64 s[0:1], -1
	s_cbranch_scc0 .LBB1_241
; %bb.221:                              ;   in Loop: Header=BB1_82 Depth=1
	s_cmpk_gt_u32 s81, 0x8d
	s_cbranch_scc0 .LBB1_231
; %bb.222:                              ;   in Loop: Header=BB1_82 Depth=1
	s_sext_i32_i16 s0, s80
	s_cmpk_lt_i32 s0, 0x8f
	s_mov_b64 s[0:1], -1
	s_cbranch_scc1 .LBB1_228
; %bb.223:                              ;   in Loop: Header=BB1_82 Depth=1
	s_cmpk_lg_i32 s81, 0x8f
	s_cbranch_scc0 .LBB1_225
; %bb.224:                              ;   in Loop: Header=BB1_82 Depth=1
	s_add_u32 s8, s36, 0x1000
	s_addc_u32 s9, s37, 0
	s_getpc_b64 s[0:1]
	s_add_u32 s0, s0, _Z51ncclDevFunc_AllReduce_RING_SIMPLE_MinMax_bf16_0_1_2v@rel32@lo+4
	s_addc_u32 s1, s1, _Z51ncclDevFunc_AllReduce_RING_SIMPLE_MinMax_bf16_0_1_2v@rel32@hi+12
	s_mov_b64 s[4:5], s[48:49]
	s_mov_b64 s[6:7], s[38:39]
	;; [unrolled: 1-line block ×3, first 2 shown]
	s_mov_b32 s12, s55
	s_mov_b32 s13, s54
	s_mov_b32 s14, s33
	v_mov_b32_e32 v31, v40
	s_swappc_b64 s[30:31], s[0:1]
	s_mov_b64 s[0:1], 0
.LBB1_225:                              ;   in Loop: Header=BB1_82 Depth=1
	s_andn2_b64 vcc, exec, s[0:1]
	s_cbranch_vccnz .LBB1_227
; %bb.226:                              ;   in Loop: Header=BB1_82 Depth=1
	s_add_u32 s8, s36, 0x1000
	s_addc_u32 s9, s37, 0
	s_getpc_b64 s[0:1]
	s_add_u32 s0, s0, _Z51ncclDevFunc_AllReduce_RING_SIMPLE_MinMax_bf16_0_0_2v@rel32@lo+4
	s_addc_u32 s1, s1, _Z51ncclDevFunc_AllReduce_RING_SIMPLE_MinMax_bf16_0_0_2v@rel32@hi+12
	s_mov_b64 s[4:5], s[48:49]
	s_mov_b64 s[6:7], s[38:39]
	;; [unrolled: 1-line block ×3, first 2 shown]
	s_mov_b32 s12, s55
	s_mov_b32 s13, s54
	s_mov_b32 s14, s33
	v_mov_b32_e32 v31, v40
	s_swappc_b64 s[30:31], s[0:1]
.LBB1_227:                              ;   in Loop: Header=BB1_82 Depth=1
	s_mov_b64 s[0:1], 0
.LBB1_228:                              ;   in Loop: Header=BB1_82 Depth=1
	s_andn2_b64 vcc, exec, s[0:1]
	s_cbranch_vccnz .LBB1_230
; %bb.229:                              ;   in Loop: Header=BB1_82 Depth=1
	s_add_u32 s8, s36, 0x1000
	s_addc_u32 s9, s37, 0
	s_getpc_b64 s[0:1]
	s_add_u32 s0, s0, _Z50ncclDevFunc_AllReduce_RING_SIMPLE_MinMax_f64_1_0_2v@rel32@lo+4
	s_addc_u32 s1, s1, _Z50ncclDevFunc_AllReduce_RING_SIMPLE_MinMax_f64_1_0_2v@rel32@hi+12
	s_mov_b64 s[4:5], s[48:49]
	s_mov_b64 s[6:7], s[38:39]
	;; [unrolled: 1-line block ×3, first 2 shown]
	s_mov_b32 s12, s55
	s_mov_b32 s13, s54
	;; [unrolled: 1-line block ×3, first 2 shown]
	v_mov_b32_e32 v31, v40
	s_swappc_b64 s[30:31], s[0:1]
.LBB1_230:                              ;   in Loop: Header=BB1_82 Depth=1
	s_mov_b64 s[0:1], 0
.LBB1_231:                              ;   in Loop: Header=BB1_82 Depth=1
	s_and_b64 vcc, exec, s[0:1]
	s_cbranch_vccz .LBB1_240
; %bb.232:                              ;   in Loop: Header=BB1_82 Depth=1
	s_sext_i32_i16 s0, s80
	s_cmpk_lt_i32 s0, 0x8c
	s_mov_b64 s[0:1], -1
	s_cbranch_scc1 .LBB1_238
; %bb.233:                              ;   in Loop: Header=BB1_82 Depth=1
	s_cmpk_lg_i32 s81, 0x8c
	s_cbranch_scc0 .LBB1_235
; %bb.234:                              ;   in Loop: Header=BB1_82 Depth=1
	s_add_u32 s8, s36, 0x1000
	s_addc_u32 s9, s37, 0
	s_getpc_b64 s[0:1]
	s_add_u32 s0, s0, _Z50ncclDevFunc_AllReduce_RING_SIMPLE_MinMax_f64_0_0_2v@rel32@lo+4
	s_addc_u32 s1, s1, _Z50ncclDevFunc_AllReduce_RING_SIMPLE_MinMax_f64_0_0_2v@rel32@hi+12
	s_mov_b64 s[4:5], s[48:49]
	s_mov_b64 s[6:7], s[38:39]
	;; [unrolled: 1-line block ×3, first 2 shown]
	s_mov_b32 s12, s55
	s_mov_b32 s13, s54
	;; [unrolled: 1-line block ×3, first 2 shown]
	v_mov_b32_e32 v31, v40
	s_swappc_b64 s[30:31], s[0:1]
	s_mov_b64 s[0:1], 0
.LBB1_235:                              ;   in Loop: Header=BB1_82 Depth=1
	s_andn2_b64 vcc, exec, s[0:1]
	s_cbranch_vccnz .LBB1_237
; %bb.236:                              ;   in Loop: Header=BB1_82 Depth=1
	s_add_u32 s8, s36, 0x1000
	s_addc_u32 s9, s37, 0
	s_getpc_b64 s[0:1]
	s_add_u32 s0, s0, _Z50ncclDevFunc_AllReduce_RING_SIMPLE_MinMax_f32_1_0_2v@rel32@lo+4
	s_addc_u32 s1, s1, _Z50ncclDevFunc_AllReduce_RING_SIMPLE_MinMax_f32_1_0_2v@rel32@hi+12
	s_mov_b64 s[4:5], s[48:49]
	s_mov_b64 s[6:7], s[38:39]
	;; [unrolled: 1-line block ×3, first 2 shown]
	s_mov_b32 s12, s55
	s_mov_b32 s13, s54
	;; [unrolled: 1-line block ×3, first 2 shown]
	v_mov_b32_e32 v31, v40
	s_swappc_b64 s[30:31], s[0:1]
.LBB1_237:                              ;   in Loop: Header=BB1_82 Depth=1
	s_mov_b64 s[0:1], 0
.LBB1_238:                              ;   in Loop: Header=BB1_82 Depth=1
	s_andn2_b64 vcc, exec, s[0:1]
	s_cbranch_vccnz .LBB1_240
; %bb.239:                              ;   in Loop: Header=BB1_82 Depth=1
	s_add_u32 s8, s36, 0x1000
	s_addc_u32 s9, s37, 0
	s_getpc_b64 s[0:1]
	s_add_u32 s0, s0, _Z50ncclDevFunc_AllReduce_RING_SIMPLE_MinMax_f32_0_0_2v@rel32@lo+4
	s_addc_u32 s1, s1, _Z50ncclDevFunc_AllReduce_RING_SIMPLE_MinMax_f32_0_0_2v@rel32@hi+12
	s_mov_b64 s[4:5], s[48:49]
	s_mov_b64 s[6:7], s[38:39]
	;; [unrolled: 1-line block ×3, first 2 shown]
	s_mov_b32 s12, s55
	s_mov_b32 s13, s54
	;; [unrolled: 1-line block ×3, first 2 shown]
	v_mov_b32_e32 v31, v40
	s_swappc_b64 s[30:31], s[0:1]
.LBB1_240:                              ;   in Loop: Header=BB1_82 Depth=1
	s_mov_b64 s[0:1], 0
.LBB1_241:                              ;   in Loop: Header=BB1_82 Depth=1
	s_andn2_b64 vcc, exec, s[0:1]
	s_cbranch_vccnz .LBB1_257
; %bb.242:                              ;   in Loop: Header=BB1_82 Depth=1
	s_cmpk_gt_u32 s81, 0x87
	s_mov_b64 s[0:1], -1
	s_cbranch_scc0 .LBB1_252
; %bb.243:                              ;   in Loop: Header=BB1_82 Depth=1
	s_sext_i32_i16 s0, s80
	s_cmpk_lt_i32 s0, 0x89
	s_mov_b64 s[0:1], -1
	s_cbranch_scc1 .LBB1_249
; %bb.244:                              ;   in Loop: Header=BB1_82 Depth=1
	s_cmpk_lg_i32 s81, 0x89
	s_cbranch_scc0 .LBB1_246
; %bb.245:                              ;   in Loop: Header=BB1_82 Depth=1
	s_add_u32 s8, s36, 0x1000
	s_addc_u32 s9, s37, 0
	s_getpc_b64 s[0:1]
	s_add_u32 s0, s0, _Z50ncclDevFunc_AllReduce_RING_SIMPLE_MinMax_f16_1_0_2v@rel32@lo+4
	s_addc_u32 s1, s1, _Z50ncclDevFunc_AllReduce_RING_SIMPLE_MinMax_f16_1_0_2v@rel32@hi+12
	s_mov_b64 s[4:5], s[48:49]
	s_mov_b64 s[6:7], s[38:39]
	;; [unrolled: 1-line block ×3, first 2 shown]
	s_mov_b32 s12, s55
	s_mov_b32 s13, s54
	;; [unrolled: 1-line block ×3, first 2 shown]
	v_mov_b32_e32 v31, v40
	s_swappc_b64 s[30:31], s[0:1]
	s_mov_b64 s[0:1], 0
.LBB1_246:                              ;   in Loop: Header=BB1_82 Depth=1
	s_andn2_b64 vcc, exec, s[0:1]
	s_cbranch_vccnz .LBB1_248
; %bb.247:                              ;   in Loop: Header=BB1_82 Depth=1
	s_add_u32 s8, s36, 0x1000
	s_addc_u32 s9, s37, 0
	s_getpc_b64 s[0:1]
	s_add_u32 s0, s0, _Z50ncclDevFunc_AllReduce_RING_SIMPLE_MinMax_f16_0_0_2v@rel32@lo+4
	s_addc_u32 s1, s1, _Z50ncclDevFunc_AllReduce_RING_SIMPLE_MinMax_f16_0_0_2v@rel32@hi+12
	s_mov_b64 s[4:5], s[48:49]
	s_mov_b64 s[6:7], s[38:39]
	;; [unrolled: 1-line block ×3, first 2 shown]
	s_mov_b32 s12, s55
	s_mov_b32 s13, s54
	;; [unrolled: 1-line block ×3, first 2 shown]
	v_mov_b32_e32 v31, v40
	s_swappc_b64 s[30:31], s[0:1]
.LBB1_248:                              ;   in Loop: Header=BB1_82 Depth=1
	s_mov_b64 s[0:1], 0
.LBB1_249:                              ;   in Loop: Header=BB1_82 Depth=1
	s_andn2_b64 vcc, exec, s[0:1]
	s_cbranch_vccnz .LBB1_251
; %bb.250:                              ;   in Loop: Header=BB1_82 Depth=1
	s_add_u32 s8, s36, 0x1000
	s_addc_u32 s9, s37, 0
	s_getpc_b64 s[0:1]
	s_add_u32 s0, s0, _Z50ncclDevFunc_AllReduce_RING_SIMPLE_MinMax_u64_1_0_2v@rel32@lo+4
	s_addc_u32 s1, s1, _Z50ncclDevFunc_AllReduce_RING_SIMPLE_MinMax_u64_1_0_2v@rel32@hi+12
	s_mov_b64 s[4:5], s[48:49]
	s_mov_b64 s[6:7], s[38:39]
	;; [unrolled: 1-line block ×3, first 2 shown]
	s_mov_b32 s12, s55
	s_mov_b32 s13, s54
	;; [unrolled: 1-line block ×3, first 2 shown]
	v_mov_b32_e32 v31, v40
	s_swappc_b64 s[30:31], s[0:1]
.LBB1_251:                              ;   in Loop: Header=BB1_82 Depth=1
	s_mov_b64 s[0:1], 0
.LBB1_252:                              ;   in Loop: Header=BB1_82 Depth=1
	s_and_b64 vcc, exec, s[0:1]
	s_cbranch_vccz .LBB1_257
; %bb.253:                              ;   in Loop: Header=BB1_82 Depth=1
	s_cmpk_eq_i32 s81, 0x87
	s_mov_b64 s[0:1], -1
	s_cbranch_scc1 .LBB1_255
; %bb.254:                              ;   in Loop: Header=BB1_82 Depth=1
	s_add_u32 s8, s36, 0x1000
	s_addc_u32 s9, s37, 0
	s_getpc_b64 s[0:1]
	s_add_u32 s0, s0, _Z50ncclDevFunc_AllReduce_RING_SIMPLE_MinMax_u32_1_0_2v@rel32@lo+4
	s_addc_u32 s1, s1, _Z50ncclDevFunc_AllReduce_RING_SIMPLE_MinMax_u32_1_0_2v@rel32@hi+12
	s_mov_b64 s[4:5], s[48:49]
	s_mov_b64 s[6:7], s[38:39]
	;; [unrolled: 1-line block ×3, first 2 shown]
	s_mov_b32 s12, s55
	s_mov_b32 s13, s54
	;; [unrolled: 1-line block ×3, first 2 shown]
	v_mov_b32_e32 v31, v40
	s_swappc_b64 s[30:31], s[0:1]
	s_mov_b64 s[0:1], 0
.LBB1_255:                              ;   in Loop: Header=BB1_82 Depth=1
	s_andn2_b64 vcc, exec, s[0:1]
	s_cbranch_vccnz .LBB1_257
; %bb.256:                              ;   in Loop: Header=BB1_82 Depth=1
	s_add_u32 s8, s36, 0x1000
	s_addc_u32 s9, s37, 0
	s_getpc_b64 s[0:1]
	s_add_u32 s0, s0, _Z50ncclDevFunc_AllReduce_RING_SIMPLE_MinMax_u64_0_0_2v@rel32@lo+4
	s_addc_u32 s1, s1, _Z50ncclDevFunc_AllReduce_RING_SIMPLE_MinMax_u64_0_0_2v@rel32@hi+12
	s_mov_b64 s[4:5], s[48:49]
	s_mov_b64 s[6:7], s[38:39]
	;; [unrolled: 1-line block ×3, first 2 shown]
	s_mov_b32 s12, s55
	s_mov_b32 s13, s54
	;; [unrolled: 1-line block ×3, first 2 shown]
	v_mov_b32_e32 v31, v40
	s_swappc_b64 s[30:31], s[0:1]
.LBB1_257:                              ;   in Loop: Header=BB1_82 Depth=1
	s_mov_b64 s[0:1], 0
.LBB1_258:                              ;   in Loop: Header=BB1_82 Depth=1
	s_andn2_b64 vcc, exec, s[0:1]
	s_cbranch_vccnz .LBB1_420
; %bb.259:                              ;   in Loop: Header=BB1_82 Depth=1
	s_cmpk_gt_u32 s81, 0x6e
	s_mov_b64 s[0:1], -1
	s_cbranch_scc0 .LBB1_342
; %bb.260:                              ;   in Loop: Header=BB1_82 Depth=1
	s_cmpk_gt_u32 s81, 0x79
	s_cbranch_scc0 .LBB1_303
; %bb.261:                              ;   in Loop: Header=BB1_82 Depth=1
	s_cmpk_gt_u32 s81, 0x7f
	s_cbranch_scc0 .LBB1_282
; %bb.262:                              ;   in Loop: Header=BB1_82 Depth=1
	s_cmpk_gt_u32 s81, 0x82
	s_cbranch_scc0 .LBB1_272
; %bb.263:                              ;   in Loop: Header=BB1_82 Depth=1
	s_sext_i32_i16 s0, s80
	s_cmpk_lt_i32 s0, 0x84
	s_mov_b64 s[0:1], -1
	s_cbranch_scc1 .LBB1_269
; %bb.264:                              ;   in Loop: Header=BB1_82 Depth=1
	s_cmpk_lg_i32 s81, 0x84
	s_cbranch_scc0 .LBB1_266
; %bb.265:                              ;   in Loop: Header=BB1_82 Depth=1
	s_add_u32 s8, s36, 0x1000
	s_addc_u32 s9, s37, 0
	s_getpc_b64 s[0:1]
	s_add_u32 s0, s0, _Z50ncclDevFunc_AllReduce_RING_SIMPLE_MinMax_u32_0_0_2v@rel32@lo+4
	s_addc_u32 s1, s1, _Z50ncclDevFunc_AllReduce_RING_SIMPLE_MinMax_u32_0_0_2v@rel32@hi+12
	s_mov_b64 s[4:5], s[48:49]
	s_mov_b64 s[6:7], s[38:39]
	;; [unrolled: 1-line block ×3, first 2 shown]
	s_mov_b32 s12, s55
	s_mov_b32 s13, s54
	;; [unrolled: 1-line block ×3, first 2 shown]
	v_mov_b32_e32 v31, v40
	s_swappc_b64 s[30:31], s[0:1]
	s_mov_b64 s[0:1], 0
.LBB1_266:                              ;   in Loop: Header=BB1_82 Depth=1
	s_andn2_b64 vcc, exec, s[0:1]
	s_cbranch_vccnz .LBB1_268
; %bb.267:                              ;   in Loop: Header=BB1_82 Depth=1
	s_add_u32 s8, s36, 0x1000
	s_addc_u32 s9, s37, 0
	s_getpc_b64 s[0:1]
	s_add_u32 s0, s0, _Z49ncclDevFunc_AllReduce_RING_SIMPLE_MinMax_u8_1_0_2v@rel32@lo+4
	s_addc_u32 s1, s1, _Z49ncclDevFunc_AllReduce_RING_SIMPLE_MinMax_u8_1_0_2v@rel32@hi+12
	s_mov_b64 s[4:5], s[48:49]
	s_mov_b64 s[6:7], s[38:39]
	;; [unrolled: 1-line block ×3, first 2 shown]
	s_mov_b32 s12, s55
	s_mov_b32 s13, s54
	s_mov_b32 s14, s33
	v_mov_b32_e32 v31, v40
	s_swappc_b64 s[30:31], s[0:1]
.LBB1_268:                              ;   in Loop: Header=BB1_82 Depth=1
	s_mov_b64 s[0:1], 0
.LBB1_269:                              ;   in Loop: Header=BB1_82 Depth=1
	s_andn2_b64 vcc, exec, s[0:1]
	s_cbranch_vccnz .LBB1_271
; %bb.270:                              ;   in Loop: Header=BB1_82 Depth=1
	s_add_u32 s8, s36, 0x1000
	s_addc_u32 s9, s37, 0
	s_getpc_b64 s[0:1]
	s_add_u32 s0, s0, _Z49ncclDevFunc_AllReduce_RING_SIMPLE_MinMax_u8_0_0_2v@rel32@lo+4
	s_addc_u32 s1, s1, _Z49ncclDevFunc_AllReduce_RING_SIMPLE_MinMax_u8_0_0_2v@rel32@hi+12
	s_mov_b64 s[4:5], s[48:49]
	s_mov_b64 s[6:7], s[38:39]
	;; [unrolled: 1-line block ×3, first 2 shown]
	s_mov_b32 s12, s55
	s_mov_b32 s13, s54
	;; [unrolled: 1-line block ×3, first 2 shown]
	v_mov_b32_e32 v31, v40
	s_swappc_b64 s[30:31], s[0:1]
.LBB1_271:                              ;   in Loop: Header=BB1_82 Depth=1
	s_mov_b64 s[0:1], 0
.LBB1_272:                              ;   in Loop: Header=BB1_82 Depth=1
	s_and_b64 vcc, exec, s[0:1]
	s_cbranch_vccz .LBB1_281
; %bb.273:                              ;   in Loop: Header=BB1_82 Depth=1
	s_sext_i32_i16 s0, s80
	s_cmpk_lt_i32 s0, 0x81
	s_mov_b64 s[0:1], -1
	s_cbranch_scc1 .LBB1_279
; %bb.274:                              ;   in Loop: Header=BB1_82 Depth=1
	s_cmpk_lg_i32 s81, 0x81
	s_cbranch_scc0 .LBB1_276
; %bb.275:                              ;   in Loop: Header=BB1_82 Depth=1
	s_add_u32 s8, s36, 0x1000
	s_addc_u32 s9, s37, 0
	s_getpc_b64 s[0:1]
	s_add_u32 s0, s0, _Z51ncclDevFunc_AllReduce_RING_SIMPLE_Prod_f8e5m2_1_0_2v@rel32@lo+4
	s_addc_u32 s1, s1, _Z51ncclDevFunc_AllReduce_RING_SIMPLE_Prod_f8e5m2_1_0_2v@rel32@hi+12
	s_mov_b64 s[4:5], s[48:49]
	s_mov_b64 s[6:7], s[38:39]
	s_mov_b64 s[10:11], s[34:35]
	s_mov_b32 s12, s55
	s_mov_b32 s13, s54
	;; [unrolled: 1-line block ×3, first 2 shown]
	v_mov_b32_e32 v31, v40
	s_swappc_b64 s[30:31], s[0:1]
	s_mov_b64 s[0:1], 0
.LBB1_276:                              ;   in Loop: Header=BB1_82 Depth=1
	s_andn2_b64 vcc, exec, s[0:1]
	s_cbranch_vccnz .LBB1_278
; %bb.277:                              ;   in Loop: Header=BB1_82 Depth=1
	s_add_u32 s8, s36, 0x1000
	s_addc_u32 s9, s37, 0
	s_getpc_b64 s[0:1]
	s_add_u32 s0, s0, _Z51ncclDevFunc_AllReduce_RING_SIMPLE_Prod_f8e5m2_0_0_2v@rel32@lo+4
	s_addc_u32 s1, s1, _Z51ncclDevFunc_AllReduce_RING_SIMPLE_Prod_f8e5m2_0_0_2v@rel32@hi+12
	s_mov_b64 s[4:5], s[48:49]
	s_mov_b64 s[6:7], s[38:39]
	;; [unrolled: 1-line block ×3, first 2 shown]
	s_mov_b32 s12, s55
	s_mov_b32 s13, s54
	;; [unrolled: 1-line block ×3, first 2 shown]
	v_mov_b32_e32 v31, v40
	s_swappc_b64 s[30:31], s[0:1]
.LBB1_278:                              ;   in Loop: Header=BB1_82 Depth=1
	s_mov_b64 s[0:1], 0
.LBB1_279:                              ;   in Loop: Header=BB1_82 Depth=1
	s_andn2_b64 vcc, exec, s[0:1]
	s_cbranch_vccnz .LBB1_281
; %bb.280:                              ;   in Loop: Header=BB1_82 Depth=1
	s_add_u32 s8, s36, 0x1000
	s_addc_u32 s9, s37, 0
	s_getpc_b64 s[0:1]
	s_add_u32 s0, s0, _Z51ncclDevFunc_AllReduce_RING_SIMPLE_Prod_f8e4m3_1_0_2v@rel32@lo+4
	s_addc_u32 s1, s1, _Z51ncclDevFunc_AllReduce_RING_SIMPLE_Prod_f8e4m3_1_0_2v@rel32@hi+12
	s_mov_b64 s[4:5], s[48:49]
	s_mov_b64 s[6:7], s[38:39]
	;; [unrolled: 1-line block ×3, first 2 shown]
	s_mov_b32 s12, s55
	s_mov_b32 s13, s54
	s_mov_b32 s14, s33
	v_mov_b32_e32 v31, v40
	s_swappc_b64 s[30:31], s[0:1]
.LBB1_281:                              ;   in Loop: Header=BB1_82 Depth=1
	s_mov_b64 s[0:1], 0
.LBB1_282:                              ;   in Loop: Header=BB1_82 Depth=1
	s_andn2_b64 vcc, exec, s[0:1]
	s_cbranch_vccnz .LBB1_302
; %bb.283:                              ;   in Loop: Header=BB1_82 Depth=1
	s_cmpk_gt_u32 s81, 0x7c
	s_mov_b64 s[0:1], -1
	s_cbranch_scc0 .LBB1_293
; %bb.284:                              ;   in Loop: Header=BB1_82 Depth=1
	s_sext_i32_i16 s0, s80
	s_cmpk_lt_i32 s0, 0x7e
	s_mov_b64 s[0:1], -1
	s_cbranch_scc1 .LBB1_290
; %bb.285:                              ;   in Loop: Header=BB1_82 Depth=1
	s_cmpk_lg_i32 s81, 0x7e
	s_cbranch_scc0 .LBB1_287
; %bb.286:                              ;   in Loop: Header=BB1_82 Depth=1
	s_add_u32 s8, s36, 0x1000
	s_addc_u32 s9, s37, 0
	s_getpc_b64 s[0:1]
	s_add_u32 s0, s0, _Z51ncclDevFunc_AllReduce_RING_SIMPLE_Prod_f8e4m3_0_0_2v@rel32@lo+4
	s_addc_u32 s1, s1, _Z51ncclDevFunc_AllReduce_RING_SIMPLE_Prod_f8e4m3_0_0_2v@rel32@hi+12
	s_mov_b64 s[4:5], s[48:49]
	s_mov_b64 s[6:7], s[38:39]
	;; [unrolled: 1-line block ×3, first 2 shown]
	s_mov_b32 s12, s55
	s_mov_b32 s13, s54
	;; [unrolled: 1-line block ×3, first 2 shown]
	v_mov_b32_e32 v31, v40
	s_swappc_b64 s[30:31], s[0:1]
	s_mov_b64 s[0:1], 0
.LBB1_287:                              ;   in Loop: Header=BB1_82 Depth=1
	s_andn2_b64 vcc, exec, s[0:1]
	s_cbranch_vccnz .LBB1_289
; %bb.288:                              ;   in Loop: Header=BB1_82 Depth=1
	s_add_u32 s8, s36, 0x1000
	s_addc_u32 s9, s37, 0
	s_getpc_b64 s[0:1]
	s_add_u32 s0, s0, _Z49ncclDevFunc_AllReduce_RING_SIMPLE_Prod_bf16_1_1_2v@rel32@lo+4
	s_addc_u32 s1, s1, _Z49ncclDevFunc_AllReduce_RING_SIMPLE_Prod_bf16_1_1_2v@rel32@hi+12
	s_mov_b64 s[4:5], s[48:49]
	s_mov_b64 s[6:7], s[38:39]
	;; [unrolled: 1-line block ×3, first 2 shown]
	s_mov_b32 s12, s55
	s_mov_b32 s13, s54
	;; [unrolled: 1-line block ×3, first 2 shown]
	v_mov_b32_e32 v31, v40
	s_swappc_b64 s[30:31], s[0:1]
.LBB1_289:                              ;   in Loop: Header=BB1_82 Depth=1
	s_mov_b64 s[0:1], 0
.LBB1_290:                              ;   in Loop: Header=BB1_82 Depth=1
	s_andn2_b64 vcc, exec, s[0:1]
	s_cbranch_vccnz .LBB1_292
; %bb.291:                              ;   in Loop: Header=BB1_82 Depth=1
	s_add_u32 s8, s36, 0x1000
	s_addc_u32 s9, s37, 0
	s_getpc_b64 s[0:1]
	s_add_u32 s0, s0, _Z49ncclDevFunc_AllReduce_RING_SIMPLE_Prod_bf16_1_0_2v@rel32@lo+4
	s_addc_u32 s1, s1, _Z49ncclDevFunc_AllReduce_RING_SIMPLE_Prod_bf16_1_0_2v@rel32@hi+12
	s_mov_b64 s[4:5], s[48:49]
	s_mov_b64 s[6:7], s[38:39]
	;; [unrolled: 1-line block ×3, first 2 shown]
	s_mov_b32 s12, s55
	s_mov_b32 s13, s54
	;; [unrolled: 1-line block ×3, first 2 shown]
	v_mov_b32_e32 v31, v40
	s_swappc_b64 s[30:31], s[0:1]
.LBB1_292:                              ;   in Loop: Header=BB1_82 Depth=1
	s_mov_b64 s[0:1], 0
.LBB1_293:                              ;   in Loop: Header=BB1_82 Depth=1
	s_and_b64 vcc, exec, s[0:1]
	s_cbranch_vccz .LBB1_302
; %bb.294:                              ;   in Loop: Header=BB1_82 Depth=1
	s_sext_i32_i16 s0, s80
	s_cmpk_lt_i32 s0, 0x7b
	s_mov_b64 s[0:1], -1
	s_cbranch_scc1 .LBB1_300
; %bb.295:                              ;   in Loop: Header=BB1_82 Depth=1
	s_cmpk_lg_i32 s81, 0x7b
	s_cbranch_scc0 .LBB1_297
; %bb.296:                              ;   in Loop: Header=BB1_82 Depth=1
	s_add_u32 s8, s36, 0x1000
	s_addc_u32 s9, s37, 0
	s_getpc_b64 s[0:1]
	s_add_u32 s0, s0, _Z49ncclDevFunc_AllReduce_RING_SIMPLE_Prod_bf16_0_1_2v@rel32@lo+4
	s_addc_u32 s1, s1, _Z49ncclDevFunc_AllReduce_RING_SIMPLE_Prod_bf16_0_1_2v@rel32@hi+12
	s_mov_b64 s[4:5], s[48:49]
	s_mov_b64 s[6:7], s[38:39]
	;; [unrolled: 1-line block ×3, first 2 shown]
	s_mov_b32 s12, s55
	s_mov_b32 s13, s54
	;; [unrolled: 1-line block ×3, first 2 shown]
	v_mov_b32_e32 v31, v40
	s_swappc_b64 s[30:31], s[0:1]
	s_mov_b64 s[0:1], 0
.LBB1_297:                              ;   in Loop: Header=BB1_82 Depth=1
	s_andn2_b64 vcc, exec, s[0:1]
	s_cbranch_vccnz .LBB1_299
; %bb.298:                              ;   in Loop: Header=BB1_82 Depth=1
	s_add_u32 s8, s36, 0x1000
	s_addc_u32 s9, s37, 0
	s_getpc_b64 s[0:1]
	s_add_u32 s0, s0, _Z49ncclDevFunc_AllReduce_RING_SIMPLE_Prod_bf16_0_0_2v@rel32@lo+4
	s_addc_u32 s1, s1, _Z49ncclDevFunc_AllReduce_RING_SIMPLE_Prod_bf16_0_0_2v@rel32@hi+12
	s_mov_b64 s[4:5], s[48:49]
	s_mov_b64 s[6:7], s[38:39]
	;; [unrolled: 1-line block ×3, first 2 shown]
	s_mov_b32 s12, s55
	s_mov_b32 s13, s54
	;; [unrolled: 1-line block ×3, first 2 shown]
	v_mov_b32_e32 v31, v40
	s_swappc_b64 s[30:31], s[0:1]
.LBB1_299:                              ;   in Loop: Header=BB1_82 Depth=1
	s_mov_b64 s[0:1], 0
.LBB1_300:                              ;   in Loop: Header=BB1_82 Depth=1
	s_andn2_b64 vcc, exec, s[0:1]
	s_cbranch_vccnz .LBB1_302
; %bb.301:                              ;   in Loop: Header=BB1_82 Depth=1
	s_add_u32 s8, s36, 0x1000
	s_addc_u32 s9, s37, 0
	s_getpc_b64 s[0:1]
	s_add_u32 s0, s0, _Z48ncclDevFunc_AllReduce_RING_SIMPLE_Prod_f64_1_0_2v@rel32@lo+4
	s_addc_u32 s1, s1, _Z48ncclDevFunc_AllReduce_RING_SIMPLE_Prod_f64_1_0_2v@rel32@hi+12
	s_mov_b64 s[4:5], s[48:49]
	s_mov_b64 s[6:7], s[38:39]
	s_mov_b64 s[10:11], s[34:35]
	s_mov_b32 s12, s55
	s_mov_b32 s13, s54
	s_mov_b32 s14, s33
	v_mov_b32_e32 v31, v40
	s_swappc_b64 s[30:31], s[0:1]
.LBB1_302:                              ;   in Loop: Header=BB1_82 Depth=1
	s_mov_b64 s[0:1], 0
.LBB1_303:                              ;   in Loop: Header=BB1_82 Depth=1
	s_andn2_b64 vcc, exec, s[0:1]
	s_cbranch_vccnz .LBB1_341
; %bb.304:                              ;   in Loop: Header=BB1_82 Depth=1
	s_cmpk_gt_u32 s81, 0x73
	s_mov_b64 s[0:1], -1
	s_cbranch_scc0 .LBB1_325
; %bb.305:                              ;   in Loop: Header=BB1_82 Depth=1
	s_cmpk_gt_u32 s81, 0x76
	s_cbranch_scc0 .LBB1_315
; %bb.306:                              ;   in Loop: Header=BB1_82 Depth=1
	s_sext_i32_i16 s0, s80
	s_cmpk_lt_i32 s0, 0x78
	s_mov_b64 s[0:1], -1
	s_cbranch_scc1 .LBB1_312
; %bb.307:                              ;   in Loop: Header=BB1_82 Depth=1
	s_cmpk_lg_i32 s81, 0x78
	s_cbranch_scc0 .LBB1_309
; %bb.308:                              ;   in Loop: Header=BB1_82 Depth=1
	s_add_u32 s8, s36, 0x1000
	s_addc_u32 s9, s37, 0
	s_getpc_b64 s[0:1]
	s_add_u32 s0, s0, _Z48ncclDevFunc_AllReduce_RING_SIMPLE_Prod_f64_0_0_2v@rel32@lo+4
	s_addc_u32 s1, s1, _Z48ncclDevFunc_AllReduce_RING_SIMPLE_Prod_f64_0_0_2v@rel32@hi+12
	s_mov_b64 s[4:5], s[48:49]
	s_mov_b64 s[6:7], s[38:39]
	;; [unrolled: 1-line block ×3, first 2 shown]
	s_mov_b32 s12, s55
	s_mov_b32 s13, s54
	;; [unrolled: 1-line block ×3, first 2 shown]
	v_mov_b32_e32 v31, v40
	s_swappc_b64 s[30:31], s[0:1]
	s_mov_b64 s[0:1], 0
.LBB1_309:                              ;   in Loop: Header=BB1_82 Depth=1
	s_andn2_b64 vcc, exec, s[0:1]
	s_cbranch_vccnz .LBB1_311
; %bb.310:                              ;   in Loop: Header=BB1_82 Depth=1
	s_add_u32 s8, s36, 0x1000
	s_addc_u32 s9, s37, 0
	s_getpc_b64 s[0:1]
	s_add_u32 s0, s0, _Z48ncclDevFunc_AllReduce_RING_SIMPLE_Prod_f32_1_0_2v@rel32@lo+4
	s_addc_u32 s1, s1, _Z48ncclDevFunc_AllReduce_RING_SIMPLE_Prod_f32_1_0_2v@rel32@hi+12
	s_mov_b64 s[4:5], s[48:49]
	s_mov_b64 s[6:7], s[38:39]
	;; [unrolled: 1-line block ×3, first 2 shown]
	s_mov_b32 s12, s55
	s_mov_b32 s13, s54
	;; [unrolled: 1-line block ×3, first 2 shown]
	v_mov_b32_e32 v31, v40
	s_swappc_b64 s[30:31], s[0:1]
.LBB1_311:                              ;   in Loop: Header=BB1_82 Depth=1
	s_mov_b64 s[0:1], 0
.LBB1_312:                              ;   in Loop: Header=BB1_82 Depth=1
	s_andn2_b64 vcc, exec, s[0:1]
	s_cbranch_vccnz .LBB1_314
; %bb.313:                              ;   in Loop: Header=BB1_82 Depth=1
	s_add_u32 s8, s36, 0x1000
	s_addc_u32 s9, s37, 0
	s_getpc_b64 s[0:1]
	s_add_u32 s0, s0, _Z48ncclDevFunc_AllReduce_RING_SIMPLE_Prod_f32_0_0_2v@rel32@lo+4
	s_addc_u32 s1, s1, _Z48ncclDevFunc_AllReduce_RING_SIMPLE_Prod_f32_0_0_2v@rel32@hi+12
	s_mov_b64 s[4:5], s[48:49]
	s_mov_b64 s[6:7], s[38:39]
	;; [unrolled: 1-line block ×3, first 2 shown]
	s_mov_b32 s12, s55
	s_mov_b32 s13, s54
	;; [unrolled: 1-line block ×3, first 2 shown]
	v_mov_b32_e32 v31, v40
	s_swappc_b64 s[30:31], s[0:1]
.LBB1_314:                              ;   in Loop: Header=BB1_82 Depth=1
	s_mov_b64 s[0:1], 0
.LBB1_315:                              ;   in Loop: Header=BB1_82 Depth=1
	s_and_b64 vcc, exec, s[0:1]
	s_cbranch_vccz .LBB1_324
; %bb.316:                              ;   in Loop: Header=BB1_82 Depth=1
	s_sext_i32_i16 s0, s80
	s_cmpk_lt_i32 s0, 0x75
	s_mov_b64 s[0:1], -1
	s_cbranch_scc1 .LBB1_322
; %bb.317:                              ;   in Loop: Header=BB1_82 Depth=1
	s_cmpk_lg_i32 s81, 0x75
	s_cbranch_scc0 .LBB1_319
; %bb.318:                              ;   in Loop: Header=BB1_82 Depth=1
	s_add_u32 s8, s36, 0x1000
	s_addc_u32 s9, s37, 0
	s_getpc_b64 s[0:1]
	s_add_u32 s0, s0, _Z48ncclDevFunc_AllReduce_RING_SIMPLE_Prod_f16_1_0_2v@rel32@lo+4
	s_addc_u32 s1, s1, _Z48ncclDevFunc_AllReduce_RING_SIMPLE_Prod_f16_1_0_2v@rel32@hi+12
	s_mov_b64 s[4:5], s[48:49]
	s_mov_b64 s[6:7], s[38:39]
	;; [unrolled: 1-line block ×3, first 2 shown]
	s_mov_b32 s12, s55
	s_mov_b32 s13, s54
	;; [unrolled: 1-line block ×3, first 2 shown]
	v_mov_b32_e32 v31, v40
	s_swappc_b64 s[30:31], s[0:1]
	s_mov_b64 s[0:1], 0
.LBB1_319:                              ;   in Loop: Header=BB1_82 Depth=1
	s_andn2_b64 vcc, exec, s[0:1]
	s_cbranch_vccnz .LBB1_321
; %bb.320:                              ;   in Loop: Header=BB1_82 Depth=1
	s_add_u32 s8, s36, 0x1000
	s_addc_u32 s9, s37, 0
	s_getpc_b64 s[0:1]
	s_add_u32 s0, s0, _Z48ncclDevFunc_AllReduce_RING_SIMPLE_Prod_f16_0_0_2v@rel32@lo+4
	s_addc_u32 s1, s1, _Z48ncclDevFunc_AllReduce_RING_SIMPLE_Prod_f16_0_0_2v@rel32@hi+12
	s_mov_b64 s[4:5], s[48:49]
	s_mov_b64 s[6:7], s[38:39]
	;; [unrolled: 1-line block ×3, first 2 shown]
	s_mov_b32 s12, s55
	s_mov_b32 s13, s54
	s_mov_b32 s14, s33
	v_mov_b32_e32 v31, v40
	s_swappc_b64 s[30:31], s[0:1]
.LBB1_321:                              ;   in Loop: Header=BB1_82 Depth=1
	s_mov_b64 s[0:1], 0
.LBB1_322:                              ;   in Loop: Header=BB1_82 Depth=1
	s_andn2_b64 vcc, exec, s[0:1]
	s_cbranch_vccnz .LBB1_324
; %bb.323:                              ;   in Loop: Header=BB1_82 Depth=1
	s_add_u32 s8, s36, 0x1000
	s_addc_u32 s9, s37, 0
	s_getpc_b64 s[0:1]
	s_add_u32 s0, s0, _Z48ncclDevFunc_AllReduce_RING_SIMPLE_Prod_u64_1_0_2v@rel32@lo+4
	s_addc_u32 s1, s1, _Z48ncclDevFunc_AllReduce_RING_SIMPLE_Prod_u64_1_0_2v@rel32@hi+12
	s_mov_b64 s[4:5], s[48:49]
	s_mov_b64 s[6:7], s[38:39]
	;; [unrolled: 1-line block ×3, first 2 shown]
	s_mov_b32 s12, s55
	s_mov_b32 s13, s54
	;; [unrolled: 1-line block ×3, first 2 shown]
	v_mov_b32_e32 v31, v40
	s_swappc_b64 s[30:31], s[0:1]
.LBB1_324:                              ;   in Loop: Header=BB1_82 Depth=1
	s_mov_b64 s[0:1], 0
.LBB1_325:                              ;   in Loop: Header=BB1_82 Depth=1
	s_andn2_b64 vcc, exec, s[0:1]
	s_cbranch_vccnz .LBB1_341
; %bb.326:                              ;   in Loop: Header=BB1_82 Depth=1
	s_cmpk_gt_u32 s81, 0x70
	s_mov_b64 s[0:1], -1
	s_cbranch_scc0 .LBB1_336
; %bb.327:                              ;   in Loop: Header=BB1_82 Depth=1
	s_sext_i32_i16 s0, s80
	s_cmpk_lt_i32 s0, 0x72
	s_mov_b64 s[0:1], -1
	s_cbranch_scc1 .LBB1_333
; %bb.328:                              ;   in Loop: Header=BB1_82 Depth=1
	s_cmpk_lg_i32 s81, 0x72
	s_cbranch_scc0 .LBB1_330
; %bb.329:                              ;   in Loop: Header=BB1_82 Depth=1
	s_add_u32 s8, s36, 0x1000
	s_addc_u32 s9, s37, 0
	s_getpc_b64 s[0:1]
	s_add_u32 s0, s0, _Z48ncclDevFunc_AllReduce_RING_SIMPLE_Prod_u64_0_0_2v@rel32@lo+4
	s_addc_u32 s1, s1, _Z48ncclDevFunc_AllReduce_RING_SIMPLE_Prod_u64_0_0_2v@rel32@hi+12
	s_mov_b64 s[4:5], s[48:49]
	s_mov_b64 s[6:7], s[38:39]
	;; [unrolled: 1-line block ×3, first 2 shown]
	s_mov_b32 s12, s55
	s_mov_b32 s13, s54
	;; [unrolled: 1-line block ×3, first 2 shown]
	v_mov_b32_e32 v31, v40
	s_swappc_b64 s[30:31], s[0:1]
	s_mov_b64 s[0:1], 0
.LBB1_330:                              ;   in Loop: Header=BB1_82 Depth=1
	s_andn2_b64 vcc, exec, s[0:1]
	s_cbranch_vccnz .LBB1_332
; %bb.331:                              ;   in Loop: Header=BB1_82 Depth=1
	s_add_u32 s8, s36, 0x1000
	s_addc_u32 s9, s37, 0
	s_getpc_b64 s[0:1]
	s_add_u32 s0, s0, _Z48ncclDevFunc_AllReduce_RING_SIMPLE_Prod_u32_1_0_2v@rel32@lo+4
	s_addc_u32 s1, s1, _Z48ncclDevFunc_AllReduce_RING_SIMPLE_Prod_u32_1_0_2v@rel32@hi+12
	s_mov_b64 s[4:5], s[48:49]
	s_mov_b64 s[6:7], s[38:39]
	;; [unrolled: 1-line block ×3, first 2 shown]
	s_mov_b32 s12, s55
	s_mov_b32 s13, s54
	;; [unrolled: 1-line block ×3, first 2 shown]
	v_mov_b32_e32 v31, v40
	s_swappc_b64 s[30:31], s[0:1]
.LBB1_332:                              ;   in Loop: Header=BB1_82 Depth=1
	s_mov_b64 s[0:1], 0
.LBB1_333:                              ;   in Loop: Header=BB1_82 Depth=1
	s_andn2_b64 vcc, exec, s[0:1]
	s_cbranch_vccnz .LBB1_335
; %bb.334:                              ;   in Loop: Header=BB1_82 Depth=1
	s_add_u32 s8, s36, 0x1000
	s_addc_u32 s9, s37, 0
	s_getpc_b64 s[0:1]
	s_add_u32 s0, s0, _Z48ncclDevFunc_AllReduce_RING_SIMPLE_Prod_u32_0_0_2v@rel32@lo+4
	s_addc_u32 s1, s1, _Z48ncclDevFunc_AllReduce_RING_SIMPLE_Prod_u32_0_0_2v@rel32@hi+12
	s_mov_b64 s[4:5], s[48:49]
	s_mov_b64 s[6:7], s[38:39]
	;; [unrolled: 1-line block ×3, first 2 shown]
	s_mov_b32 s12, s55
	s_mov_b32 s13, s54
	;; [unrolled: 1-line block ×3, first 2 shown]
	v_mov_b32_e32 v31, v40
	s_swappc_b64 s[30:31], s[0:1]
.LBB1_335:                              ;   in Loop: Header=BB1_82 Depth=1
	s_mov_b64 s[0:1], 0
.LBB1_336:                              ;   in Loop: Header=BB1_82 Depth=1
	s_and_b64 vcc, exec, s[0:1]
	s_cbranch_vccz .LBB1_341
; %bb.337:                              ;   in Loop: Header=BB1_82 Depth=1
	s_cmpk_eq_i32 s81, 0x70
	s_mov_b64 s[0:1], -1
	s_cbranch_scc1 .LBB1_339
; %bb.338:                              ;   in Loop: Header=BB1_82 Depth=1
	s_add_u32 s8, s36, 0x1000
	s_addc_u32 s9, s37, 0
	s_getpc_b64 s[0:1]
	s_add_u32 s0, s0, _Z47ncclDevFunc_AllReduce_RING_SIMPLE_Prod_u8_0_0_2v@rel32@lo+4
	s_addc_u32 s1, s1, _Z47ncclDevFunc_AllReduce_RING_SIMPLE_Prod_u8_0_0_2v@rel32@hi+12
	s_mov_b64 s[4:5], s[48:49]
	s_mov_b64 s[6:7], s[38:39]
	;; [unrolled: 1-line block ×3, first 2 shown]
	s_mov_b32 s12, s55
	s_mov_b32 s13, s54
	;; [unrolled: 1-line block ×3, first 2 shown]
	v_mov_b32_e32 v31, v40
	s_swappc_b64 s[30:31], s[0:1]
	s_mov_b64 s[0:1], 0
.LBB1_339:                              ;   in Loop: Header=BB1_82 Depth=1
	s_andn2_b64 vcc, exec, s[0:1]
	s_cbranch_vccnz .LBB1_341
; %bb.340:                              ;   in Loop: Header=BB1_82 Depth=1
	s_add_u32 s8, s36, 0x1000
	s_addc_u32 s9, s37, 0
	s_getpc_b64 s[0:1]
	s_add_u32 s0, s0, _Z47ncclDevFunc_AllReduce_RING_SIMPLE_Prod_u8_1_0_2v@rel32@lo+4
	s_addc_u32 s1, s1, _Z47ncclDevFunc_AllReduce_RING_SIMPLE_Prod_u8_1_0_2v@rel32@hi+12
	s_mov_b64 s[4:5], s[48:49]
	s_mov_b64 s[6:7], s[38:39]
	;; [unrolled: 1-line block ×3, first 2 shown]
	s_mov_b32 s12, s55
	s_mov_b32 s13, s54
	;; [unrolled: 1-line block ×3, first 2 shown]
	v_mov_b32_e32 v31, v40
	s_swappc_b64 s[30:31], s[0:1]
.LBB1_341:                              ;   in Loop: Header=BB1_82 Depth=1
	s_mov_b64 s[0:1], 0
.LBB1_342:                              ;   in Loop: Header=BB1_82 Depth=1
	s_andn2_b64 vcc, exec, s[0:1]
	s_cbranch_vccnz .LBB1_420
; %bb.343:                              ;   in Loop: Header=BB1_82 Depth=1
	s_cmpk_gt_u32 s81, 0x63
	s_mov_b64 s[0:1], -1
	s_cbranch_scc0 .LBB1_382
; %bb.344:                              ;   in Loop: Header=BB1_82 Depth=1
	s_cmpk_gt_u32 s81, 0x68
	s_cbranch_scc0 .LBB1_365
; %bb.345:                              ;   in Loop: Header=BB1_82 Depth=1
	s_cmpk_gt_u32 s81, 0x6b
	s_cbranch_scc0 .LBB1_355
; %bb.346:                              ;   in Loop: Header=BB1_82 Depth=1
	s_sext_i32_i16 s0, s80
	s_cmpk_lt_i32 s0, 0x6d
	s_mov_b64 s[0:1], -1
	s_cbranch_scc1 .LBB1_352
; %bb.347:                              ;   in Loop: Header=BB1_82 Depth=1
	s_cmpk_lg_i32 s81, 0x6d
	s_cbranch_scc0 .LBB1_349
; %bb.348:                              ;   in Loop: Header=BB1_82 Depth=1
	s_add_u32 s8, s36, 0x1000
	s_addc_u32 s9, s37, 0
	s_getpc_b64 s[0:1]
	s_add_u32 s0, s0, _Z50ncclDevFunc_AllReduce_RING_SIMPLE_Sum_f8e5m2_1_0_2v@rel32@lo+4
	s_addc_u32 s1, s1, _Z50ncclDevFunc_AllReduce_RING_SIMPLE_Sum_f8e5m2_1_0_2v@rel32@hi+12
	s_mov_b64 s[4:5], s[48:49]
	s_mov_b64 s[6:7], s[38:39]
	;; [unrolled: 1-line block ×3, first 2 shown]
	s_mov_b32 s12, s55
	s_mov_b32 s13, s54
	;; [unrolled: 1-line block ×3, first 2 shown]
	v_mov_b32_e32 v31, v40
	s_swappc_b64 s[30:31], s[0:1]
	s_mov_b64 s[0:1], 0
.LBB1_349:                              ;   in Loop: Header=BB1_82 Depth=1
	s_andn2_b64 vcc, exec, s[0:1]
	s_cbranch_vccnz .LBB1_351
; %bb.350:                              ;   in Loop: Header=BB1_82 Depth=1
	s_add_u32 s8, s36, 0x1000
	s_addc_u32 s9, s37, 0
	s_getpc_b64 s[0:1]
	s_add_u32 s0, s0, _Z50ncclDevFunc_AllReduce_RING_SIMPLE_Sum_f8e5m2_0_0_2v@rel32@lo+4
	s_addc_u32 s1, s1, _Z50ncclDevFunc_AllReduce_RING_SIMPLE_Sum_f8e5m2_0_0_2v@rel32@hi+12
	s_mov_b64 s[4:5], s[48:49]
	s_mov_b64 s[6:7], s[38:39]
	;; [unrolled: 1-line block ×3, first 2 shown]
	s_mov_b32 s12, s55
	s_mov_b32 s13, s54
	;; [unrolled: 1-line block ×3, first 2 shown]
	v_mov_b32_e32 v31, v40
	s_swappc_b64 s[30:31], s[0:1]
.LBB1_351:                              ;   in Loop: Header=BB1_82 Depth=1
	s_mov_b64 s[0:1], 0
.LBB1_352:                              ;   in Loop: Header=BB1_82 Depth=1
	s_andn2_b64 vcc, exec, s[0:1]
	s_cbranch_vccnz .LBB1_354
; %bb.353:                              ;   in Loop: Header=BB1_82 Depth=1
	s_add_u32 s8, s36, 0x1000
	s_addc_u32 s9, s37, 0
	s_getpc_b64 s[0:1]
	s_add_u32 s0, s0, _Z50ncclDevFunc_AllReduce_RING_SIMPLE_Sum_f8e4m3_1_0_2v@rel32@lo+4
	s_addc_u32 s1, s1, _Z50ncclDevFunc_AllReduce_RING_SIMPLE_Sum_f8e4m3_1_0_2v@rel32@hi+12
	s_mov_b64 s[4:5], s[48:49]
	s_mov_b64 s[6:7], s[38:39]
	s_mov_b64 s[10:11], s[34:35]
	s_mov_b32 s12, s55
	s_mov_b32 s13, s54
	;; [unrolled: 1-line block ×3, first 2 shown]
	v_mov_b32_e32 v31, v40
	s_swappc_b64 s[30:31], s[0:1]
.LBB1_354:                              ;   in Loop: Header=BB1_82 Depth=1
	s_mov_b64 s[0:1], 0
.LBB1_355:                              ;   in Loop: Header=BB1_82 Depth=1
	s_and_b64 vcc, exec, s[0:1]
	s_cbranch_vccz .LBB1_364
; %bb.356:                              ;   in Loop: Header=BB1_82 Depth=1
	s_sext_i32_i16 s0, s80
	s_cmpk_lt_i32 s0, 0x6a
	s_mov_b64 s[0:1], -1
	s_cbranch_scc1 .LBB1_362
; %bb.357:                              ;   in Loop: Header=BB1_82 Depth=1
	s_cmpk_lg_i32 s81, 0x6a
	s_cbranch_scc0 .LBB1_359
; %bb.358:                              ;   in Loop: Header=BB1_82 Depth=1
	s_add_u32 s8, s36, 0x1000
	s_addc_u32 s9, s37, 0
	s_getpc_b64 s[0:1]
	s_add_u32 s0, s0, _Z50ncclDevFunc_AllReduce_RING_SIMPLE_Sum_f8e4m3_0_0_2v@rel32@lo+4
	s_addc_u32 s1, s1, _Z50ncclDevFunc_AllReduce_RING_SIMPLE_Sum_f8e4m3_0_0_2v@rel32@hi+12
	s_mov_b64 s[4:5], s[48:49]
	s_mov_b64 s[6:7], s[38:39]
	;; [unrolled: 1-line block ×3, first 2 shown]
	s_mov_b32 s12, s55
	s_mov_b32 s13, s54
	;; [unrolled: 1-line block ×3, first 2 shown]
	v_mov_b32_e32 v31, v40
	s_swappc_b64 s[30:31], s[0:1]
	s_mov_b64 s[0:1], 0
.LBB1_359:                              ;   in Loop: Header=BB1_82 Depth=1
	s_andn2_b64 vcc, exec, s[0:1]
	s_cbranch_vccnz .LBB1_361
; %bb.360:                              ;   in Loop: Header=BB1_82 Depth=1
	s_add_u32 s8, s36, 0x1000
	s_addc_u32 s9, s37, 0
	s_getpc_b64 s[0:1]
	s_add_u32 s0, s0, _Z48ncclDevFunc_AllReduce_RING_SIMPLE_Sum_bf16_1_1_2v@rel32@lo+4
	s_addc_u32 s1, s1, _Z48ncclDevFunc_AllReduce_RING_SIMPLE_Sum_bf16_1_1_2v@rel32@hi+12
	s_mov_b64 s[4:5], s[48:49]
	s_mov_b64 s[6:7], s[38:39]
	;; [unrolled: 1-line block ×3, first 2 shown]
	s_mov_b32 s12, s55
	s_mov_b32 s13, s54
	;; [unrolled: 1-line block ×3, first 2 shown]
	v_mov_b32_e32 v31, v40
	s_swappc_b64 s[30:31], s[0:1]
.LBB1_361:                              ;   in Loop: Header=BB1_82 Depth=1
	s_mov_b64 s[0:1], 0
.LBB1_362:                              ;   in Loop: Header=BB1_82 Depth=1
	s_andn2_b64 vcc, exec, s[0:1]
	s_cbranch_vccnz .LBB1_364
; %bb.363:                              ;   in Loop: Header=BB1_82 Depth=1
	s_add_u32 s8, s36, 0x1000
	s_addc_u32 s9, s37, 0
	s_getpc_b64 s[0:1]
	s_add_u32 s0, s0, _Z48ncclDevFunc_AllReduce_RING_SIMPLE_Sum_bf16_1_0_2v@rel32@lo+4
	s_addc_u32 s1, s1, _Z48ncclDevFunc_AllReduce_RING_SIMPLE_Sum_bf16_1_0_2v@rel32@hi+12
	s_mov_b64 s[4:5], s[48:49]
	s_mov_b64 s[6:7], s[38:39]
	;; [unrolled: 1-line block ×3, first 2 shown]
	s_mov_b32 s12, s55
	s_mov_b32 s13, s54
	;; [unrolled: 1-line block ×3, first 2 shown]
	v_mov_b32_e32 v31, v40
	s_swappc_b64 s[30:31], s[0:1]
.LBB1_364:                              ;   in Loop: Header=BB1_82 Depth=1
	s_mov_b64 s[0:1], 0
.LBB1_365:                              ;   in Loop: Header=BB1_82 Depth=1
	s_andn2_b64 vcc, exec, s[0:1]
	s_cbranch_vccnz .LBB1_381
; %bb.366:                              ;   in Loop: Header=BB1_82 Depth=1
	s_cmpk_gt_u32 s81, 0x65
	s_mov_b64 s[0:1], -1
	s_cbranch_scc0 .LBB1_376
; %bb.367:                              ;   in Loop: Header=BB1_82 Depth=1
	s_sext_i32_i16 s0, s80
	s_cmpk_lt_i32 s0, 0x67
	s_mov_b64 s[0:1], -1
	s_cbranch_scc1 .LBB1_373
; %bb.368:                              ;   in Loop: Header=BB1_82 Depth=1
	s_cmpk_lg_i32 s81, 0x67
	s_cbranch_scc0 .LBB1_370
; %bb.369:                              ;   in Loop: Header=BB1_82 Depth=1
	s_add_u32 s8, s36, 0x1000
	s_addc_u32 s9, s37, 0
	s_getpc_b64 s[0:1]
	s_add_u32 s0, s0, _Z48ncclDevFunc_AllReduce_RING_SIMPLE_Sum_bf16_0_1_2v@rel32@lo+4
	s_addc_u32 s1, s1, _Z48ncclDevFunc_AllReduce_RING_SIMPLE_Sum_bf16_0_1_2v@rel32@hi+12
	s_mov_b64 s[4:5], s[48:49]
	s_mov_b64 s[6:7], s[38:39]
	;; [unrolled: 1-line block ×3, first 2 shown]
	s_mov_b32 s12, s55
	s_mov_b32 s13, s54
	;; [unrolled: 1-line block ×3, first 2 shown]
	v_mov_b32_e32 v31, v40
	s_swappc_b64 s[30:31], s[0:1]
	s_mov_b64 s[0:1], 0
.LBB1_370:                              ;   in Loop: Header=BB1_82 Depth=1
	s_andn2_b64 vcc, exec, s[0:1]
	s_cbranch_vccnz .LBB1_372
; %bb.371:                              ;   in Loop: Header=BB1_82 Depth=1
	s_add_u32 s8, s36, 0x1000
	s_addc_u32 s9, s37, 0
	s_getpc_b64 s[0:1]
	s_add_u32 s0, s0, _Z48ncclDevFunc_AllReduce_RING_SIMPLE_Sum_bf16_0_0_2v@rel32@lo+4
	s_addc_u32 s1, s1, _Z48ncclDevFunc_AllReduce_RING_SIMPLE_Sum_bf16_0_0_2v@rel32@hi+12
	s_mov_b64 s[4:5], s[48:49]
	s_mov_b64 s[6:7], s[38:39]
	;; [unrolled: 1-line block ×3, first 2 shown]
	s_mov_b32 s12, s55
	s_mov_b32 s13, s54
	;; [unrolled: 1-line block ×3, first 2 shown]
	v_mov_b32_e32 v31, v40
	s_swappc_b64 s[30:31], s[0:1]
.LBB1_372:                              ;   in Loop: Header=BB1_82 Depth=1
	s_mov_b64 s[0:1], 0
.LBB1_373:                              ;   in Loop: Header=BB1_82 Depth=1
	s_andn2_b64 vcc, exec, s[0:1]
	s_cbranch_vccnz .LBB1_375
; %bb.374:                              ;   in Loop: Header=BB1_82 Depth=1
	s_add_u32 s8, s36, 0x1000
	s_addc_u32 s9, s37, 0
	s_getpc_b64 s[0:1]
	s_add_u32 s0, s0, _Z47ncclDevFunc_AllReduce_RING_SIMPLE_Sum_f64_1_0_2v@rel32@lo+4
	s_addc_u32 s1, s1, _Z47ncclDevFunc_AllReduce_RING_SIMPLE_Sum_f64_1_0_2v@rel32@hi+12
	s_mov_b64 s[4:5], s[48:49]
	s_mov_b64 s[6:7], s[38:39]
	;; [unrolled: 1-line block ×3, first 2 shown]
	s_mov_b32 s12, s55
	s_mov_b32 s13, s54
	;; [unrolled: 1-line block ×3, first 2 shown]
	v_mov_b32_e32 v31, v40
	s_swappc_b64 s[30:31], s[0:1]
.LBB1_375:                              ;   in Loop: Header=BB1_82 Depth=1
	s_mov_b64 s[0:1], 0
.LBB1_376:                              ;   in Loop: Header=BB1_82 Depth=1
	s_and_b64 vcc, exec, s[0:1]
	s_cbranch_vccz .LBB1_381
; %bb.377:                              ;   in Loop: Header=BB1_82 Depth=1
	s_cmpk_eq_i32 s81, 0x65
	s_mov_b64 s[0:1], -1
	s_cbranch_scc1 .LBB1_379
; %bb.378:                              ;   in Loop: Header=BB1_82 Depth=1
	s_add_u32 s8, s36, 0x1000
	s_addc_u32 s9, s37, 0
	s_getpc_b64 s[0:1]
	s_add_u32 s0, s0, _Z47ncclDevFunc_AllReduce_RING_SIMPLE_Sum_f32_1_0_2v@rel32@lo+4
	s_addc_u32 s1, s1, _Z47ncclDevFunc_AllReduce_RING_SIMPLE_Sum_f32_1_0_2v@rel32@hi+12
	s_mov_b64 s[4:5], s[48:49]
	s_mov_b64 s[6:7], s[38:39]
	;; [unrolled: 1-line block ×3, first 2 shown]
	s_mov_b32 s12, s55
	s_mov_b32 s13, s54
	;; [unrolled: 1-line block ×3, first 2 shown]
	v_mov_b32_e32 v31, v40
	s_swappc_b64 s[30:31], s[0:1]
	s_mov_b64 s[0:1], 0
.LBB1_379:                              ;   in Loop: Header=BB1_82 Depth=1
	s_andn2_b64 vcc, exec, s[0:1]
	s_cbranch_vccnz .LBB1_381
; %bb.380:                              ;   in Loop: Header=BB1_82 Depth=1
	s_add_u32 s8, s36, 0x1000
	s_addc_u32 s9, s37, 0
	s_getpc_b64 s[0:1]
	s_add_u32 s0, s0, _Z47ncclDevFunc_AllReduce_RING_SIMPLE_Sum_f64_0_0_2v@rel32@lo+4
	s_addc_u32 s1, s1, _Z47ncclDevFunc_AllReduce_RING_SIMPLE_Sum_f64_0_0_2v@rel32@hi+12
	s_mov_b64 s[4:5], s[48:49]
	s_mov_b64 s[6:7], s[38:39]
	;; [unrolled: 1-line block ×3, first 2 shown]
	s_mov_b32 s12, s55
	s_mov_b32 s13, s54
	;; [unrolled: 1-line block ×3, first 2 shown]
	v_mov_b32_e32 v31, v40
	s_swappc_b64 s[30:31], s[0:1]
.LBB1_381:                              ;   in Loop: Header=BB1_82 Depth=1
	s_mov_b64 s[0:1], 0
.LBB1_382:                              ;   in Loop: Header=BB1_82 Depth=1
	s_andn2_b64 vcc, exec, s[0:1]
	s_cbranch_vccnz .LBB1_420
; %bb.383:                              ;   in Loop: Header=BB1_82 Depth=1
	s_cmpk_gt_u32 s81, 0x5d
	s_mov_b64 s[0:1], -1
	s_cbranch_scc0 .LBB1_404
; %bb.384:                              ;   in Loop: Header=BB1_82 Depth=1
	s_cmpk_gt_u32 s81, 0x60
	s_cbranch_scc0 .LBB1_394
; %bb.385:                              ;   in Loop: Header=BB1_82 Depth=1
	s_sext_i32_i16 s0, s80
	s_cmpk_lt_i32 s0, 0x62
	s_mov_b64 s[0:1], -1
	s_cbranch_scc1 .LBB1_391
; %bb.386:                              ;   in Loop: Header=BB1_82 Depth=1
	s_cmpk_lg_i32 s81, 0x62
	s_cbranch_scc0 .LBB1_388
; %bb.387:                              ;   in Loop: Header=BB1_82 Depth=1
	s_add_u32 s8, s36, 0x1000
	s_addc_u32 s9, s37, 0
	s_getpc_b64 s[0:1]
	s_add_u32 s0, s0, _Z47ncclDevFunc_AllReduce_RING_SIMPLE_Sum_f32_0_0_2v@rel32@lo+4
	s_addc_u32 s1, s1, _Z47ncclDevFunc_AllReduce_RING_SIMPLE_Sum_f32_0_0_2v@rel32@hi+12
	s_mov_b64 s[4:5], s[48:49]
	s_mov_b64 s[6:7], s[38:39]
	;; [unrolled: 1-line block ×3, first 2 shown]
	s_mov_b32 s12, s55
	s_mov_b32 s13, s54
	;; [unrolled: 1-line block ×3, first 2 shown]
	v_mov_b32_e32 v31, v40
	s_swappc_b64 s[30:31], s[0:1]
	s_mov_b64 s[0:1], 0
.LBB1_388:                              ;   in Loop: Header=BB1_82 Depth=1
	s_andn2_b64 vcc, exec, s[0:1]
	s_cbranch_vccnz .LBB1_390
; %bb.389:                              ;   in Loop: Header=BB1_82 Depth=1
	s_add_u32 s8, s36, 0x1000
	s_addc_u32 s9, s37, 0
	s_getpc_b64 s[0:1]
	s_add_u32 s0, s0, _Z47ncclDevFunc_AllReduce_RING_SIMPLE_Sum_f16_1_0_2v@rel32@lo+4
	s_addc_u32 s1, s1, _Z47ncclDevFunc_AllReduce_RING_SIMPLE_Sum_f16_1_0_2v@rel32@hi+12
	s_mov_b64 s[4:5], s[48:49]
	s_mov_b64 s[6:7], s[38:39]
	;; [unrolled: 1-line block ×3, first 2 shown]
	s_mov_b32 s12, s55
	s_mov_b32 s13, s54
	;; [unrolled: 1-line block ×3, first 2 shown]
	v_mov_b32_e32 v31, v40
	s_swappc_b64 s[30:31], s[0:1]
.LBB1_390:                              ;   in Loop: Header=BB1_82 Depth=1
	s_mov_b64 s[0:1], 0
.LBB1_391:                              ;   in Loop: Header=BB1_82 Depth=1
	s_andn2_b64 vcc, exec, s[0:1]
	s_cbranch_vccnz .LBB1_393
; %bb.392:                              ;   in Loop: Header=BB1_82 Depth=1
	s_add_u32 s8, s36, 0x1000
	s_addc_u32 s9, s37, 0
	s_getpc_b64 s[0:1]
	s_add_u32 s0, s0, _Z47ncclDevFunc_AllReduce_RING_SIMPLE_Sum_f16_0_0_2v@rel32@lo+4
	s_addc_u32 s1, s1, _Z47ncclDevFunc_AllReduce_RING_SIMPLE_Sum_f16_0_0_2v@rel32@hi+12
	s_mov_b64 s[4:5], s[48:49]
	s_mov_b64 s[6:7], s[38:39]
	;; [unrolled: 1-line block ×3, first 2 shown]
	s_mov_b32 s12, s55
	s_mov_b32 s13, s54
	;; [unrolled: 1-line block ×3, first 2 shown]
	v_mov_b32_e32 v31, v40
	s_swappc_b64 s[30:31], s[0:1]
.LBB1_393:                              ;   in Loop: Header=BB1_82 Depth=1
	s_mov_b64 s[0:1], 0
.LBB1_394:                              ;   in Loop: Header=BB1_82 Depth=1
	s_and_b64 vcc, exec, s[0:1]
	s_cbranch_vccz .LBB1_403
; %bb.395:                              ;   in Loop: Header=BB1_82 Depth=1
	s_sext_i32_i16 s0, s80
	s_cmpk_lt_i32 s0, 0x5f
	s_mov_b64 s[0:1], -1
	s_cbranch_scc1 .LBB1_401
; %bb.396:                              ;   in Loop: Header=BB1_82 Depth=1
	s_cmpk_lg_i32 s81, 0x5f
	s_cbranch_scc0 .LBB1_398
; %bb.397:                              ;   in Loop: Header=BB1_82 Depth=1
	s_add_u32 s8, s36, 0x1000
	s_addc_u32 s9, s37, 0
	s_getpc_b64 s[0:1]
	s_add_u32 s0, s0, _Z47ncclDevFunc_AllReduce_RING_SIMPLE_Sum_u64_1_0_2v@rel32@lo+4
	s_addc_u32 s1, s1, _Z47ncclDevFunc_AllReduce_RING_SIMPLE_Sum_u64_1_0_2v@rel32@hi+12
	s_mov_b64 s[4:5], s[48:49]
	s_mov_b64 s[6:7], s[38:39]
	;; [unrolled: 1-line block ×3, first 2 shown]
	s_mov_b32 s12, s55
	s_mov_b32 s13, s54
	s_mov_b32 s14, s33
	v_mov_b32_e32 v31, v40
	s_swappc_b64 s[30:31], s[0:1]
	s_mov_b64 s[0:1], 0
.LBB1_398:                              ;   in Loop: Header=BB1_82 Depth=1
	s_andn2_b64 vcc, exec, s[0:1]
	s_cbranch_vccnz .LBB1_400
; %bb.399:                              ;   in Loop: Header=BB1_82 Depth=1
	s_add_u32 s8, s36, 0x1000
	s_addc_u32 s9, s37, 0
	s_getpc_b64 s[0:1]
	s_add_u32 s0, s0, _Z47ncclDevFunc_AllReduce_RING_SIMPLE_Sum_u64_0_0_2v@rel32@lo+4
	s_addc_u32 s1, s1, _Z47ncclDevFunc_AllReduce_RING_SIMPLE_Sum_u64_0_0_2v@rel32@hi+12
	s_mov_b64 s[4:5], s[48:49]
	s_mov_b64 s[6:7], s[38:39]
	s_mov_b64 s[10:11], s[34:35]
	s_mov_b32 s12, s55
	s_mov_b32 s13, s54
	;; [unrolled: 1-line block ×3, first 2 shown]
	v_mov_b32_e32 v31, v40
	s_swappc_b64 s[30:31], s[0:1]
.LBB1_400:                              ;   in Loop: Header=BB1_82 Depth=1
	s_mov_b64 s[0:1], 0
.LBB1_401:                              ;   in Loop: Header=BB1_82 Depth=1
	s_andn2_b64 vcc, exec, s[0:1]
	s_cbranch_vccnz .LBB1_403
; %bb.402:                              ;   in Loop: Header=BB1_82 Depth=1
	s_add_u32 s8, s36, 0x1000
	s_addc_u32 s9, s37, 0
	s_getpc_b64 s[0:1]
	s_add_u32 s0, s0, _Z47ncclDevFunc_AllReduce_RING_SIMPLE_Sum_u32_1_0_2v@rel32@lo+4
	s_addc_u32 s1, s1, _Z47ncclDevFunc_AllReduce_RING_SIMPLE_Sum_u32_1_0_2v@rel32@hi+12
	s_mov_b64 s[4:5], s[48:49]
	s_mov_b64 s[6:7], s[38:39]
	;; [unrolled: 1-line block ×3, first 2 shown]
	s_mov_b32 s12, s55
	s_mov_b32 s13, s54
	s_mov_b32 s14, s33
	v_mov_b32_e32 v31, v40
	s_swappc_b64 s[30:31], s[0:1]
.LBB1_403:                              ;   in Loop: Header=BB1_82 Depth=1
	s_mov_b64 s[0:1], 0
.LBB1_404:                              ;   in Loop: Header=BB1_82 Depth=1
	s_andn2_b64 vcc, exec, s[0:1]
	s_cbranch_vccnz .LBB1_420
; %bb.405:                              ;   in Loop: Header=BB1_82 Depth=1
	s_cmpk_gt_u32 s81, 0x5a
	s_mov_b64 s[0:1], -1
	s_cbranch_scc0 .LBB1_415
; %bb.406:                              ;   in Loop: Header=BB1_82 Depth=1
	s_sext_i32_i16 s0, s80
	s_cmpk_lt_i32 s0, 0x5c
	s_mov_b64 s[0:1], -1
	s_cbranch_scc1 .LBB1_412
; %bb.407:                              ;   in Loop: Header=BB1_82 Depth=1
	s_cmpk_lg_i32 s81, 0x5c
	s_cbranch_scc0 .LBB1_409
; %bb.408:                              ;   in Loop: Header=BB1_82 Depth=1
	s_add_u32 s8, s36, 0x1000
	s_addc_u32 s9, s37, 0
	s_getpc_b64 s[0:1]
	s_add_u32 s0, s0, _Z47ncclDevFunc_AllReduce_RING_SIMPLE_Sum_u32_0_0_2v@rel32@lo+4
	s_addc_u32 s1, s1, _Z47ncclDevFunc_AllReduce_RING_SIMPLE_Sum_u32_0_0_2v@rel32@hi+12
	s_mov_b64 s[4:5], s[48:49]
	s_mov_b64 s[6:7], s[38:39]
	;; [unrolled: 1-line block ×3, first 2 shown]
	s_mov_b32 s12, s55
	s_mov_b32 s13, s54
	;; [unrolled: 1-line block ×3, first 2 shown]
	v_mov_b32_e32 v31, v40
	s_swappc_b64 s[30:31], s[0:1]
	s_mov_b64 s[0:1], 0
.LBB1_409:                              ;   in Loop: Header=BB1_82 Depth=1
	s_andn2_b64 vcc, exec, s[0:1]
	s_cbranch_vccnz .LBB1_411
; %bb.410:                              ;   in Loop: Header=BB1_82 Depth=1
	s_add_u32 s8, s36, 0x1000
	s_addc_u32 s9, s37, 0
	s_getpc_b64 s[0:1]
	s_add_u32 s0, s0, _Z46ncclDevFunc_AllReduce_RING_SIMPLE_Sum_u8_1_0_2v@rel32@lo+4
	s_addc_u32 s1, s1, _Z46ncclDevFunc_AllReduce_RING_SIMPLE_Sum_u8_1_0_2v@rel32@hi+12
	s_mov_b64 s[4:5], s[48:49]
	s_mov_b64 s[6:7], s[38:39]
	;; [unrolled: 1-line block ×3, first 2 shown]
	s_mov_b32 s12, s55
	s_mov_b32 s13, s54
	;; [unrolled: 1-line block ×3, first 2 shown]
	v_mov_b32_e32 v31, v40
	s_swappc_b64 s[30:31], s[0:1]
.LBB1_411:                              ;   in Loop: Header=BB1_82 Depth=1
	s_mov_b64 s[0:1], 0
.LBB1_412:                              ;   in Loop: Header=BB1_82 Depth=1
	s_andn2_b64 vcc, exec, s[0:1]
	s_cbranch_vccnz .LBB1_414
; %bb.413:                              ;   in Loop: Header=BB1_82 Depth=1
	s_add_u32 s8, s36, 0x1000
	s_addc_u32 s9, s37, 0
	s_getpc_b64 s[0:1]
	s_add_u32 s0, s0, _Z46ncclDevFunc_AllReduce_RING_SIMPLE_Sum_u8_0_0_2v@rel32@lo+4
	s_addc_u32 s1, s1, _Z46ncclDevFunc_AllReduce_RING_SIMPLE_Sum_u8_0_0_2v@rel32@hi+12
	s_mov_b64 s[4:5], s[48:49]
	s_mov_b64 s[6:7], s[38:39]
	;; [unrolled: 1-line block ×3, first 2 shown]
	s_mov_b32 s12, s55
	s_mov_b32 s13, s54
	s_mov_b32 s14, s33
	v_mov_b32_e32 v31, v40
	s_swappc_b64 s[30:31], s[0:1]
.LBB1_414:                              ;   in Loop: Header=BB1_82 Depth=1
	s_mov_b64 s[0:1], 0
.LBB1_415:                              ;   in Loop: Header=BB1_82 Depth=1
	s_and_b64 vcc, exec, s[0:1]
	s_cbranch_vccz .LBB1_420
; %bb.416:                              ;   in Loop: Header=BB1_82 Depth=1
	s_cmpk_eq_i32 s81, 0x5a
	s_mov_b64 s[0:1], -1
	s_cbranch_scc1 .LBB1_418
; %bb.417:                              ;   in Loop: Header=BB1_82 Depth=1
	s_add_u32 s8, s36, 0x1000
	s_addc_u32 s9, s37, 0
	s_getpc_b64 s[0:1]
	s_add_u32 s0, s0, _Z54ncclDevFunc_ReduceScatter_RING_LL_SumPostDiv_u32_0_0_2v@rel32@lo+4
	s_addc_u32 s1, s1, _Z54ncclDevFunc_ReduceScatter_RING_LL_SumPostDiv_u32_0_0_2v@rel32@hi+12
	s_mov_b64 s[4:5], s[48:49]
	s_mov_b64 s[6:7], s[38:39]
	;; [unrolled: 1-line block ×3, first 2 shown]
	s_mov_b32 s12, s55
	s_mov_b32 s13, s54
	;; [unrolled: 1-line block ×3, first 2 shown]
	v_mov_b32_e32 v31, v40
	s_swappc_b64 s[30:31], s[0:1]
	s_mov_b64 s[0:1], 0
.LBB1_418:                              ;   in Loop: Header=BB1_82 Depth=1
	s_andn2_b64 vcc, exec, s[0:1]
	s_cbranch_vccnz .LBB1_420
; %bb.419:                              ;   in Loop: Header=BB1_82 Depth=1
	s_add_u32 s8, s36, 0x1000
	s_addc_u32 s9, s37, 0
	s_getpc_b64 s[0:1]
	s_add_u32 s0, s0, _Z54ncclDevFunc_ReduceScatter_RING_LL_SumPostDiv_u64_0_0_2v@rel32@lo+4
	s_addc_u32 s1, s1, _Z54ncclDevFunc_ReduceScatter_RING_LL_SumPostDiv_u64_0_0_2v@rel32@hi+12
	s_mov_b64 s[4:5], s[48:49]
	s_mov_b64 s[6:7], s[38:39]
	;; [unrolled: 1-line block ×3, first 2 shown]
	s_mov_b32 s12, s55
	s_mov_b32 s13, s54
	;; [unrolled: 1-line block ×3, first 2 shown]
	v_mov_b32_e32 v31, v40
	s_swappc_b64 s[30:31], s[0:1]
.LBB1_420:                              ;   in Loop: Header=BB1_82 Depth=1
	s_mov_b64 s[0:1], 0
.LBB1_421:                              ;   in Loop: Header=BB1_82 Depth=1
	s_andn2_b64 vcc, exec, s[0:1]
	s_cbranch_vccnz .LBB1_732
; %bb.422:                              ;   in Loop: Header=BB1_82 Depth=1
	s_and_b32 s66, 0xffff, s80
	s_cmp_gt_u32 s66, 43
	s_mov_b64 s[0:1], -1
	s_cbranch_scc0 .LBB1_577
; %bb.423:                              ;   in Loop: Header=BB1_82 Depth=1
	s_cmpk_gt_u32 s66, 0x41
	s_cbranch_scc0 .LBB1_506
; %bb.424:                              ;   in Loop: Header=BB1_82 Depth=1
	s_cmpk_gt_u32 s66, 0x4c
	;; [unrolled: 3-line block ×4, first 2 shown]
	s_cbranch_scc0 .LBB1_436
; %bb.427:                              ;   in Loop: Header=BB1_82 Depth=1
	s_sext_i32_i16 s0, s80
	s_cmpk_lt_i32 s0, 0x57
	s_mov_b64 s[0:1], -1
	s_cbranch_scc1 .LBB1_433
; %bb.428:                              ;   in Loop: Header=BB1_82 Depth=1
	s_cmpk_lg_i32 s66, 0x57
	s_cbranch_scc0 .LBB1_430
; %bb.429:                              ;   in Loop: Header=BB1_82 Depth=1
	s_add_u32 s8, s36, 0x1000
	s_addc_u32 s9, s37, 0
	s_getpc_b64 s[0:1]
	s_add_u32 s0, s0, _Z53ncclDevFunc_ReduceScatter_RING_LL_SumPostDiv_u8_0_0_2v@rel32@lo+4
	s_addc_u32 s1, s1, _Z53ncclDevFunc_ReduceScatter_RING_LL_SumPostDiv_u8_0_0_2v@rel32@hi+12
	s_mov_b64 s[4:5], s[48:49]
	s_mov_b64 s[6:7], s[38:39]
	;; [unrolled: 1-line block ×3, first 2 shown]
	s_mov_b32 s12, s55
	s_mov_b32 s13, s54
	;; [unrolled: 1-line block ×3, first 2 shown]
	v_mov_b32_e32 v31, v40
	s_swappc_b64 s[30:31], s[0:1]
	s_mov_b64 s[0:1], 0
.LBB1_430:                              ;   in Loop: Header=BB1_82 Depth=1
	s_andn2_b64 vcc, exec, s[0:1]
	s_cbranch_vccnz .LBB1_432
; %bb.431:                              ;   in Loop: Header=BB1_82 Depth=1
	s_add_u32 s8, s36, 0x1000
	s_addc_u32 s9, s37, 0
	s_getpc_b64 s[0:1]
	s_add_u32 s0, s0, _Z56ncclDevFunc_ReduceScatter_RING_LL_PreMulSum_f8e5m2_0_0_2v@rel32@lo+4
	s_addc_u32 s1, s1, _Z56ncclDevFunc_ReduceScatter_RING_LL_PreMulSum_f8e5m2_0_0_2v@rel32@hi+12
	s_mov_b64 s[4:5], s[48:49]
	s_mov_b64 s[6:7], s[38:39]
	;; [unrolled: 1-line block ×3, first 2 shown]
	s_mov_b32 s12, s55
	s_mov_b32 s13, s54
	;; [unrolled: 1-line block ×3, first 2 shown]
	v_mov_b32_e32 v31, v40
	s_swappc_b64 s[30:31], s[0:1]
.LBB1_432:                              ;   in Loop: Header=BB1_82 Depth=1
	s_mov_b64 s[0:1], 0
.LBB1_433:                              ;   in Loop: Header=BB1_82 Depth=1
	s_andn2_b64 vcc, exec, s[0:1]
	s_cbranch_vccnz .LBB1_435
; %bb.434:                              ;   in Loop: Header=BB1_82 Depth=1
	s_add_u32 s8, s36, 0x1000
	s_addc_u32 s9, s37, 0
	s_getpc_b64 s[0:1]
	s_add_u32 s0, s0, _Z56ncclDevFunc_ReduceScatter_RING_LL_PreMulSum_f8e4m3_0_0_2v@rel32@lo+4
	s_addc_u32 s1, s1, _Z56ncclDevFunc_ReduceScatter_RING_LL_PreMulSum_f8e4m3_0_0_2v@rel32@hi+12
	s_mov_b64 s[4:5], s[48:49]
	s_mov_b64 s[6:7], s[38:39]
	;; [unrolled: 1-line block ×3, first 2 shown]
	s_mov_b32 s12, s55
	s_mov_b32 s13, s54
	;; [unrolled: 1-line block ×3, first 2 shown]
	v_mov_b32_e32 v31, v40
	s_swappc_b64 s[30:31], s[0:1]
.LBB1_435:                              ;   in Loop: Header=BB1_82 Depth=1
	s_mov_b64 s[0:1], 0
.LBB1_436:                              ;   in Loop: Header=BB1_82 Depth=1
	s_and_b64 vcc, exec, s[0:1]
	s_cbranch_vccz .LBB1_445
; %bb.437:                              ;   in Loop: Header=BB1_82 Depth=1
	s_sext_i32_i16 s0, s80
	s_cmpk_lt_i32 s0, 0x54
	s_mov_b64 s[0:1], -1
	s_cbranch_scc1 .LBB1_443
; %bb.438:                              ;   in Loop: Header=BB1_82 Depth=1
	s_cmpk_lg_i32 s66, 0x54
	s_cbranch_scc0 .LBB1_440
; %bb.439:                              ;   in Loop: Header=BB1_82 Depth=1
	s_add_u32 s8, s36, 0x1000
	s_addc_u32 s9, s37, 0
	s_getpc_b64 s[0:1]
	s_add_u32 s0, s0, _Z54ncclDevFunc_ReduceScatter_RING_LL_PreMulSum_bf16_0_0_2v@rel32@lo+4
	s_addc_u32 s1, s1, _Z54ncclDevFunc_ReduceScatter_RING_LL_PreMulSum_bf16_0_0_2v@rel32@hi+12
	s_mov_b64 s[4:5], s[48:49]
	s_mov_b64 s[6:7], s[38:39]
	;; [unrolled: 1-line block ×3, first 2 shown]
	s_mov_b32 s12, s55
	s_mov_b32 s13, s54
	;; [unrolled: 1-line block ×3, first 2 shown]
	v_mov_b32_e32 v31, v40
	s_swappc_b64 s[30:31], s[0:1]
	s_mov_b64 s[0:1], 0
.LBB1_440:                              ;   in Loop: Header=BB1_82 Depth=1
	s_andn2_b64 vcc, exec, s[0:1]
	s_cbranch_vccnz .LBB1_442
; %bb.441:                              ;   in Loop: Header=BB1_82 Depth=1
	s_add_u32 s8, s36, 0x1000
	s_addc_u32 s9, s37, 0
	s_getpc_b64 s[0:1]
	s_add_u32 s0, s0, _Z53ncclDevFunc_ReduceScatter_RING_LL_PreMulSum_f64_0_0_2v@rel32@lo+4
	s_addc_u32 s1, s1, _Z53ncclDevFunc_ReduceScatter_RING_LL_PreMulSum_f64_0_0_2v@rel32@hi+12
	s_mov_b64 s[4:5], s[48:49]
	s_mov_b64 s[6:7], s[38:39]
	;; [unrolled: 1-line block ×3, first 2 shown]
	s_mov_b32 s12, s55
	s_mov_b32 s13, s54
	;; [unrolled: 1-line block ×3, first 2 shown]
	v_mov_b32_e32 v31, v40
	s_swappc_b64 s[30:31], s[0:1]
.LBB1_442:                              ;   in Loop: Header=BB1_82 Depth=1
	s_mov_b64 s[0:1], 0
.LBB1_443:                              ;   in Loop: Header=BB1_82 Depth=1
	s_andn2_b64 vcc, exec, s[0:1]
	s_cbranch_vccnz .LBB1_445
; %bb.444:                              ;   in Loop: Header=BB1_82 Depth=1
	s_add_u32 s8, s36, 0x1000
	s_addc_u32 s9, s37, 0
	s_getpc_b64 s[0:1]
	s_add_u32 s0, s0, _Z53ncclDevFunc_ReduceScatter_RING_LL_PreMulSum_f32_0_0_2v@rel32@lo+4
	s_addc_u32 s1, s1, _Z53ncclDevFunc_ReduceScatter_RING_LL_PreMulSum_f32_0_0_2v@rel32@hi+12
	s_mov_b64 s[4:5], s[48:49]
	s_mov_b64 s[6:7], s[38:39]
	;; [unrolled: 1-line block ×3, first 2 shown]
	s_mov_b32 s12, s55
	s_mov_b32 s13, s54
	;; [unrolled: 1-line block ×3, first 2 shown]
	v_mov_b32_e32 v31, v40
	s_swappc_b64 s[30:31], s[0:1]
.LBB1_445:                              ;   in Loop: Header=BB1_82 Depth=1
	s_mov_b64 s[0:1], 0
.LBB1_446:                              ;   in Loop: Header=BB1_82 Depth=1
	s_andn2_b64 vcc, exec, s[0:1]
	s_cbranch_vccnz .LBB1_466
; %bb.447:                              ;   in Loop: Header=BB1_82 Depth=1
	s_cmpk_gt_u32 s66, 0x4f
	s_mov_b64 s[0:1], -1
	s_cbranch_scc0 .LBB1_457
; %bb.448:                              ;   in Loop: Header=BB1_82 Depth=1
	s_sext_i32_i16 s0, s80
	s_cmpk_lt_i32 s0, 0x51
	s_mov_b64 s[0:1], -1
	s_cbranch_scc1 .LBB1_454
; %bb.449:                              ;   in Loop: Header=BB1_82 Depth=1
	s_cmpk_lg_i32 s66, 0x51
	s_cbranch_scc0 .LBB1_451
; %bb.450:                              ;   in Loop: Header=BB1_82 Depth=1
	s_add_u32 s8, s36, 0x1000
	s_addc_u32 s9, s37, 0
	s_getpc_b64 s[0:1]
	s_add_u32 s0, s0, _Z53ncclDevFunc_ReduceScatter_RING_LL_PreMulSum_f16_0_0_2v@rel32@lo+4
	s_addc_u32 s1, s1, _Z53ncclDevFunc_ReduceScatter_RING_LL_PreMulSum_f16_0_0_2v@rel32@hi+12
	s_mov_b64 s[4:5], s[48:49]
	s_mov_b64 s[6:7], s[38:39]
	;; [unrolled: 1-line block ×3, first 2 shown]
	s_mov_b32 s12, s55
	s_mov_b32 s13, s54
	s_mov_b32 s14, s33
	v_mov_b32_e32 v31, v40
	s_swappc_b64 s[30:31], s[0:1]
	s_mov_b64 s[0:1], 0
.LBB1_451:                              ;   in Loop: Header=BB1_82 Depth=1
	s_andn2_b64 vcc, exec, s[0:1]
	s_cbranch_vccnz .LBB1_453
; %bb.452:                              ;   in Loop: Header=BB1_82 Depth=1
	s_add_u32 s8, s36, 0x1000
	s_addc_u32 s9, s37, 0
	s_getpc_b64 s[0:1]
	s_add_u32 s0, s0, _Z53ncclDevFunc_ReduceScatter_RING_LL_PreMulSum_u64_0_0_2v@rel32@lo+4
	s_addc_u32 s1, s1, _Z53ncclDevFunc_ReduceScatter_RING_LL_PreMulSum_u64_0_0_2v@rel32@hi+12
	s_mov_b64 s[4:5], s[48:49]
	s_mov_b64 s[6:7], s[38:39]
	;; [unrolled: 1-line block ×3, first 2 shown]
	s_mov_b32 s12, s55
	s_mov_b32 s13, s54
	;; [unrolled: 1-line block ×3, first 2 shown]
	v_mov_b32_e32 v31, v40
	s_swappc_b64 s[30:31], s[0:1]
.LBB1_453:                              ;   in Loop: Header=BB1_82 Depth=1
	s_mov_b64 s[0:1], 0
.LBB1_454:                              ;   in Loop: Header=BB1_82 Depth=1
	s_andn2_b64 vcc, exec, s[0:1]
	s_cbranch_vccnz .LBB1_456
; %bb.455:                              ;   in Loop: Header=BB1_82 Depth=1
	s_add_u32 s8, s36, 0x1000
	s_addc_u32 s9, s37, 0
	s_getpc_b64 s[0:1]
	s_add_u32 s0, s0, _Z53ncclDevFunc_ReduceScatter_RING_LL_PreMulSum_u32_0_0_2v@rel32@lo+4
	s_addc_u32 s1, s1, _Z53ncclDevFunc_ReduceScatter_RING_LL_PreMulSum_u32_0_0_2v@rel32@hi+12
	s_mov_b64 s[4:5], s[48:49]
	s_mov_b64 s[6:7], s[38:39]
	;; [unrolled: 1-line block ×3, first 2 shown]
	s_mov_b32 s12, s55
	s_mov_b32 s13, s54
	;; [unrolled: 1-line block ×3, first 2 shown]
	v_mov_b32_e32 v31, v40
	s_swappc_b64 s[30:31], s[0:1]
.LBB1_456:                              ;   in Loop: Header=BB1_82 Depth=1
	s_mov_b64 s[0:1], 0
.LBB1_457:                              ;   in Loop: Header=BB1_82 Depth=1
	s_and_b64 vcc, exec, s[0:1]
	s_cbranch_vccz .LBB1_466
; %bb.458:                              ;   in Loop: Header=BB1_82 Depth=1
	s_sext_i32_i16 s0, s80
	s_cmpk_lt_i32 s0, 0x4e
	s_mov_b64 s[0:1], -1
	s_cbranch_scc1 .LBB1_464
; %bb.459:                              ;   in Loop: Header=BB1_82 Depth=1
	s_cmpk_lg_i32 s66, 0x4e
	s_cbranch_scc0 .LBB1_461
; %bb.460:                              ;   in Loop: Header=BB1_82 Depth=1
	s_add_u32 s8, s36, 0x1000
	s_addc_u32 s9, s37, 0
	s_getpc_b64 s[0:1]
	s_add_u32 s0, s0, _Z52ncclDevFunc_ReduceScatter_RING_LL_PreMulSum_u8_0_0_2v@rel32@lo+4
	s_addc_u32 s1, s1, _Z52ncclDevFunc_ReduceScatter_RING_LL_PreMulSum_u8_0_0_2v@rel32@hi+12
	s_mov_b64 s[4:5], s[48:49]
	s_mov_b64 s[6:7], s[38:39]
	;; [unrolled: 1-line block ×3, first 2 shown]
	s_mov_b32 s12, s55
	s_mov_b32 s13, s54
	;; [unrolled: 1-line block ×3, first 2 shown]
	v_mov_b32_e32 v31, v40
	s_swappc_b64 s[30:31], s[0:1]
	s_mov_b64 s[0:1], 0
.LBB1_461:                              ;   in Loop: Header=BB1_82 Depth=1
	s_andn2_b64 vcc, exec, s[0:1]
	s_cbranch_vccnz .LBB1_463
; %bb.462:                              ;   in Loop: Header=BB1_82 Depth=1
	s_add_u32 s8, s36, 0x1000
	s_addc_u32 s9, s37, 0
	s_getpc_b64 s[0:1]
	s_add_u32 s0, s0, _Z53ncclDevFunc_ReduceScatter_RING_LL_MinMax_f8e5m2_0_0_2v@rel32@lo+4
	s_addc_u32 s1, s1, _Z53ncclDevFunc_ReduceScatter_RING_LL_MinMax_f8e5m2_0_0_2v@rel32@hi+12
	s_mov_b64 s[4:5], s[48:49]
	s_mov_b64 s[6:7], s[38:39]
	;; [unrolled: 1-line block ×3, first 2 shown]
	s_mov_b32 s12, s55
	s_mov_b32 s13, s54
	;; [unrolled: 1-line block ×3, first 2 shown]
	v_mov_b32_e32 v31, v40
	s_swappc_b64 s[30:31], s[0:1]
.LBB1_463:                              ;   in Loop: Header=BB1_82 Depth=1
	s_mov_b64 s[0:1], 0
.LBB1_464:                              ;   in Loop: Header=BB1_82 Depth=1
	s_andn2_b64 vcc, exec, s[0:1]
	s_cbranch_vccnz .LBB1_466
; %bb.465:                              ;   in Loop: Header=BB1_82 Depth=1
	s_add_u32 s8, s36, 0x1000
	s_addc_u32 s9, s37, 0
	s_getpc_b64 s[0:1]
	s_add_u32 s0, s0, _Z53ncclDevFunc_ReduceScatter_RING_LL_MinMax_f8e4m3_0_0_2v@rel32@lo+4
	s_addc_u32 s1, s1, _Z53ncclDevFunc_ReduceScatter_RING_LL_MinMax_f8e4m3_0_0_2v@rel32@hi+12
	s_mov_b64 s[4:5], s[48:49]
	s_mov_b64 s[6:7], s[38:39]
	;; [unrolled: 1-line block ×3, first 2 shown]
	s_mov_b32 s12, s55
	s_mov_b32 s13, s54
	;; [unrolled: 1-line block ×3, first 2 shown]
	v_mov_b32_e32 v31, v40
	s_swappc_b64 s[30:31], s[0:1]
.LBB1_466:                              ;   in Loop: Header=BB1_82 Depth=1
	s_mov_b64 s[0:1], 0
.LBB1_467:                              ;   in Loop: Header=BB1_82 Depth=1
	s_andn2_b64 vcc, exec, s[0:1]
	s_cbranch_vccnz .LBB1_505
; %bb.468:                              ;   in Loop: Header=BB1_82 Depth=1
	s_cmpk_gt_u32 s66, 0x46
	s_mov_b64 s[0:1], -1
	s_cbranch_scc0 .LBB1_489
; %bb.469:                              ;   in Loop: Header=BB1_82 Depth=1
	s_cmpk_gt_u32 s66, 0x49
	s_cbranch_scc0 .LBB1_479
; %bb.470:                              ;   in Loop: Header=BB1_82 Depth=1
	s_sext_i32_i16 s0, s80
	s_cmpk_lt_i32 s0, 0x4b
	s_mov_b64 s[0:1], -1
	s_cbranch_scc1 .LBB1_476
; %bb.471:                              ;   in Loop: Header=BB1_82 Depth=1
	s_cmpk_lg_i32 s66, 0x4b
	s_cbranch_scc0 .LBB1_473
; %bb.472:                              ;   in Loop: Header=BB1_82 Depth=1
	s_add_u32 s8, s36, 0x1000
	s_addc_u32 s9, s37, 0
	s_getpc_b64 s[0:1]
	s_add_u32 s0, s0, _Z51ncclDevFunc_ReduceScatter_RING_LL_MinMax_bf16_0_0_2v@rel32@lo+4
	s_addc_u32 s1, s1, _Z51ncclDevFunc_ReduceScatter_RING_LL_MinMax_bf16_0_0_2v@rel32@hi+12
	s_mov_b64 s[4:5], s[48:49]
	s_mov_b64 s[6:7], s[38:39]
	;; [unrolled: 1-line block ×3, first 2 shown]
	s_mov_b32 s12, s55
	s_mov_b32 s13, s54
	;; [unrolled: 1-line block ×3, first 2 shown]
	v_mov_b32_e32 v31, v40
	s_swappc_b64 s[30:31], s[0:1]
	s_mov_b64 s[0:1], 0
.LBB1_473:                              ;   in Loop: Header=BB1_82 Depth=1
	s_andn2_b64 vcc, exec, s[0:1]
	s_cbranch_vccnz .LBB1_475
; %bb.474:                              ;   in Loop: Header=BB1_82 Depth=1
	s_add_u32 s8, s36, 0x1000
	s_addc_u32 s9, s37, 0
	s_getpc_b64 s[0:1]
	s_add_u32 s0, s0, _Z50ncclDevFunc_ReduceScatter_RING_LL_MinMax_f64_0_0_2v@rel32@lo+4
	s_addc_u32 s1, s1, _Z50ncclDevFunc_ReduceScatter_RING_LL_MinMax_f64_0_0_2v@rel32@hi+12
	s_mov_b64 s[4:5], s[48:49]
	s_mov_b64 s[6:7], s[38:39]
	;; [unrolled: 1-line block ×3, first 2 shown]
	s_mov_b32 s12, s55
	s_mov_b32 s13, s54
	;; [unrolled: 1-line block ×3, first 2 shown]
	v_mov_b32_e32 v31, v40
	s_swappc_b64 s[30:31], s[0:1]
.LBB1_475:                              ;   in Loop: Header=BB1_82 Depth=1
	s_mov_b64 s[0:1], 0
.LBB1_476:                              ;   in Loop: Header=BB1_82 Depth=1
	s_andn2_b64 vcc, exec, s[0:1]
	s_cbranch_vccnz .LBB1_478
; %bb.477:                              ;   in Loop: Header=BB1_82 Depth=1
	s_add_u32 s8, s36, 0x1000
	s_addc_u32 s9, s37, 0
	s_getpc_b64 s[0:1]
	s_add_u32 s0, s0, _Z50ncclDevFunc_ReduceScatter_RING_LL_MinMax_f32_0_0_2v@rel32@lo+4
	s_addc_u32 s1, s1, _Z50ncclDevFunc_ReduceScatter_RING_LL_MinMax_f32_0_0_2v@rel32@hi+12
	s_mov_b64 s[4:5], s[48:49]
	s_mov_b64 s[6:7], s[38:39]
	;; [unrolled: 1-line block ×3, first 2 shown]
	s_mov_b32 s12, s55
	s_mov_b32 s13, s54
	;; [unrolled: 1-line block ×3, first 2 shown]
	v_mov_b32_e32 v31, v40
	s_swappc_b64 s[30:31], s[0:1]
.LBB1_478:                              ;   in Loop: Header=BB1_82 Depth=1
	s_mov_b64 s[0:1], 0
.LBB1_479:                              ;   in Loop: Header=BB1_82 Depth=1
	s_and_b64 vcc, exec, s[0:1]
	s_cbranch_vccz .LBB1_488
; %bb.480:                              ;   in Loop: Header=BB1_82 Depth=1
	s_sext_i32_i16 s0, s80
	s_cmpk_lt_i32 s0, 0x48
	s_mov_b64 s[0:1], -1
	s_cbranch_scc1 .LBB1_486
; %bb.481:                              ;   in Loop: Header=BB1_82 Depth=1
	s_cmpk_lg_i32 s66, 0x48
	s_cbranch_scc0 .LBB1_483
; %bb.482:                              ;   in Loop: Header=BB1_82 Depth=1
	s_add_u32 s8, s36, 0x1000
	s_addc_u32 s9, s37, 0
	s_getpc_b64 s[0:1]
	s_add_u32 s0, s0, _Z50ncclDevFunc_ReduceScatter_RING_LL_MinMax_f16_0_0_2v@rel32@lo+4
	s_addc_u32 s1, s1, _Z50ncclDevFunc_ReduceScatter_RING_LL_MinMax_f16_0_0_2v@rel32@hi+12
	s_mov_b64 s[4:5], s[48:49]
	s_mov_b64 s[6:7], s[38:39]
	;; [unrolled: 1-line block ×3, first 2 shown]
	s_mov_b32 s12, s55
	s_mov_b32 s13, s54
	;; [unrolled: 1-line block ×3, first 2 shown]
	v_mov_b32_e32 v31, v40
	s_swappc_b64 s[30:31], s[0:1]
	s_mov_b64 s[0:1], 0
.LBB1_483:                              ;   in Loop: Header=BB1_82 Depth=1
	s_andn2_b64 vcc, exec, s[0:1]
	s_cbranch_vccnz .LBB1_485
; %bb.484:                              ;   in Loop: Header=BB1_82 Depth=1
	s_add_u32 s8, s36, 0x1000
	s_addc_u32 s9, s37, 0
	s_getpc_b64 s[0:1]
	s_add_u32 s0, s0, _Z50ncclDevFunc_ReduceScatter_RING_LL_MinMax_u64_0_0_2v@rel32@lo+4
	s_addc_u32 s1, s1, _Z50ncclDevFunc_ReduceScatter_RING_LL_MinMax_u64_0_0_2v@rel32@hi+12
	s_mov_b64 s[4:5], s[48:49]
	s_mov_b64 s[6:7], s[38:39]
	;; [unrolled: 1-line block ×3, first 2 shown]
	s_mov_b32 s12, s55
	s_mov_b32 s13, s54
	;; [unrolled: 1-line block ×3, first 2 shown]
	v_mov_b32_e32 v31, v40
	s_swappc_b64 s[30:31], s[0:1]
.LBB1_485:                              ;   in Loop: Header=BB1_82 Depth=1
	s_mov_b64 s[0:1], 0
.LBB1_486:                              ;   in Loop: Header=BB1_82 Depth=1
	s_andn2_b64 vcc, exec, s[0:1]
	s_cbranch_vccnz .LBB1_488
; %bb.487:                              ;   in Loop: Header=BB1_82 Depth=1
	s_add_u32 s8, s36, 0x1000
	s_addc_u32 s9, s37, 0
	s_getpc_b64 s[0:1]
	s_add_u32 s0, s0, _Z50ncclDevFunc_ReduceScatter_RING_LL_MinMax_u32_0_0_2v@rel32@lo+4
	s_addc_u32 s1, s1, _Z50ncclDevFunc_ReduceScatter_RING_LL_MinMax_u32_0_0_2v@rel32@hi+12
	s_mov_b64 s[4:5], s[48:49]
	s_mov_b64 s[6:7], s[38:39]
	;; [unrolled: 1-line block ×3, first 2 shown]
	s_mov_b32 s12, s55
	s_mov_b32 s13, s54
	;; [unrolled: 1-line block ×3, first 2 shown]
	v_mov_b32_e32 v31, v40
	s_swappc_b64 s[30:31], s[0:1]
.LBB1_488:                              ;   in Loop: Header=BB1_82 Depth=1
	s_mov_b64 s[0:1], 0
.LBB1_489:                              ;   in Loop: Header=BB1_82 Depth=1
	s_andn2_b64 vcc, exec, s[0:1]
	s_cbranch_vccnz .LBB1_505
; %bb.490:                              ;   in Loop: Header=BB1_82 Depth=1
	s_cmpk_gt_u32 s66, 0x43
	s_mov_b64 s[0:1], -1
	s_cbranch_scc0 .LBB1_500
; %bb.491:                              ;   in Loop: Header=BB1_82 Depth=1
	s_sext_i32_i16 s0, s80
	s_cmpk_lt_i32 s0, 0x45
	s_mov_b64 s[0:1], -1
	s_cbranch_scc1 .LBB1_497
; %bb.492:                              ;   in Loop: Header=BB1_82 Depth=1
	s_cmpk_lg_i32 s66, 0x45
	s_cbranch_scc0 .LBB1_494
; %bb.493:                              ;   in Loop: Header=BB1_82 Depth=1
	s_add_u32 s8, s36, 0x1000
	s_addc_u32 s9, s37, 0
	s_getpc_b64 s[0:1]
	s_add_u32 s0, s0, _Z49ncclDevFunc_ReduceScatter_RING_LL_MinMax_u8_0_0_2v@rel32@lo+4
	s_addc_u32 s1, s1, _Z49ncclDevFunc_ReduceScatter_RING_LL_MinMax_u8_0_0_2v@rel32@hi+12
	s_mov_b64 s[4:5], s[48:49]
	s_mov_b64 s[6:7], s[38:39]
	s_mov_b64 s[10:11], s[34:35]
	s_mov_b32 s12, s55
	s_mov_b32 s13, s54
	;; [unrolled: 1-line block ×3, first 2 shown]
	v_mov_b32_e32 v31, v40
	s_swappc_b64 s[30:31], s[0:1]
	s_mov_b64 s[0:1], 0
.LBB1_494:                              ;   in Loop: Header=BB1_82 Depth=1
	s_andn2_b64 vcc, exec, s[0:1]
	s_cbranch_vccnz .LBB1_496
; %bb.495:                              ;   in Loop: Header=BB1_82 Depth=1
	s_add_u32 s8, s36, 0x1000
	s_addc_u32 s9, s37, 0
	s_getpc_b64 s[0:1]
	s_add_u32 s0, s0, _Z51ncclDevFunc_ReduceScatter_RING_LL_Prod_f8e5m2_0_0_2v@rel32@lo+4
	s_addc_u32 s1, s1, _Z51ncclDevFunc_ReduceScatter_RING_LL_Prod_f8e5m2_0_0_2v@rel32@hi+12
	s_mov_b64 s[4:5], s[48:49]
	s_mov_b64 s[6:7], s[38:39]
	;; [unrolled: 1-line block ×3, first 2 shown]
	s_mov_b32 s12, s55
	s_mov_b32 s13, s54
	;; [unrolled: 1-line block ×3, first 2 shown]
	v_mov_b32_e32 v31, v40
	s_swappc_b64 s[30:31], s[0:1]
.LBB1_496:                              ;   in Loop: Header=BB1_82 Depth=1
	s_mov_b64 s[0:1], 0
.LBB1_497:                              ;   in Loop: Header=BB1_82 Depth=1
	s_andn2_b64 vcc, exec, s[0:1]
	s_cbranch_vccnz .LBB1_499
; %bb.498:                              ;   in Loop: Header=BB1_82 Depth=1
	s_add_u32 s8, s36, 0x1000
	s_addc_u32 s9, s37, 0
	s_getpc_b64 s[0:1]
	s_add_u32 s0, s0, _Z51ncclDevFunc_ReduceScatter_RING_LL_Prod_f8e4m3_0_0_2v@rel32@lo+4
	s_addc_u32 s1, s1, _Z51ncclDevFunc_ReduceScatter_RING_LL_Prod_f8e4m3_0_0_2v@rel32@hi+12
	s_mov_b64 s[4:5], s[48:49]
	s_mov_b64 s[6:7], s[38:39]
	;; [unrolled: 1-line block ×3, first 2 shown]
	s_mov_b32 s12, s55
	s_mov_b32 s13, s54
	;; [unrolled: 1-line block ×3, first 2 shown]
	v_mov_b32_e32 v31, v40
	s_swappc_b64 s[30:31], s[0:1]
.LBB1_499:                              ;   in Loop: Header=BB1_82 Depth=1
	s_mov_b64 s[0:1], 0
.LBB1_500:                              ;   in Loop: Header=BB1_82 Depth=1
	s_and_b64 vcc, exec, s[0:1]
	s_cbranch_vccz .LBB1_505
; %bb.501:                              ;   in Loop: Header=BB1_82 Depth=1
	s_cmpk_eq_i32 s66, 0x43
	s_mov_b64 s[0:1], -1
	s_cbranch_scc1 .LBB1_503
; %bb.502:                              ;   in Loop: Header=BB1_82 Depth=1
	s_add_u32 s8, s36, 0x1000
	s_addc_u32 s9, s37, 0
	s_getpc_b64 s[0:1]
	s_add_u32 s0, s0, _Z48ncclDevFunc_ReduceScatter_RING_LL_Prod_f64_0_0_2v@rel32@lo+4
	s_addc_u32 s1, s1, _Z48ncclDevFunc_ReduceScatter_RING_LL_Prod_f64_0_0_2v@rel32@hi+12
	s_mov_b64 s[4:5], s[48:49]
	s_mov_b64 s[6:7], s[38:39]
	;; [unrolled: 1-line block ×3, first 2 shown]
	s_mov_b32 s12, s55
	s_mov_b32 s13, s54
	;; [unrolled: 1-line block ×3, first 2 shown]
	v_mov_b32_e32 v31, v40
	s_swappc_b64 s[30:31], s[0:1]
	s_mov_b64 s[0:1], 0
.LBB1_503:                              ;   in Loop: Header=BB1_82 Depth=1
	s_andn2_b64 vcc, exec, s[0:1]
	s_cbranch_vccnz .LBB1_505
; %bb.504:                              ;   in Loop: Header=BB1_82 Depth=1
	s_add_u32 s8, s36, 0x1000
	s_addc_u32 s9, s37, 0
	s_getpc_b64 s[0:1]
	s_add_u32 s0, s0, _Z49ncclDevFunc_ReduceScatter_RING_LL_Prod_bf16_0_0_2v@rel32@lo+4
	s_addc_u32 s1, s1, _Z49ncclDevFunc_ReduceScatter_RING_LL_Prod_bf16_0_0_2v@rel32@hi+12
	s_mov_b64 s[4:5], s[48:49]
	s_mov_b64 s[6:7], s[38:39]
	;; [unrolled: 1-line block ×3, first 2 shown]
	s_mov_b32 s12, s55
	s_mov_b32 s13, s54
	;; [unrolled: 1-line block ×3, first 2 shown]
	v_mov_b32_e32 v31, v40
	s_swappc_b64 s[30:31], s[0:1]
.LBB1_505:                              ;   in Loop: Header=BB1_82 Depth=1
	s_mov_b64 s[0:1], 0
.LBB1_506:                              ;   in Loop: Header=BB1_82 Depth=1
	s_andn2_b64 vcc, exec, s[0:1]
	s_cbranch_vccnz .LBB1_576
; %bb.507:                              ;   in Loop: Header=BB1_82 Depth=1
	s_cmp_gt_u32 s66, 54
	s_mov_b64 s[0:1], -1
	s_cbranch_scc0 .LBB1_546
; %bb.508:                              ;   in Loop: Header=BB1_82 Depth=1
	s_cmp_gt_u32 s66, 59
	s_cbranch_scc0 .LBB1_529
; %bb.509:                              ;   in Loop: Header=BB1_82 Depth=1
	s_cmp_gt_u32 s66, 62
	s_cbranch_scc0 .LBB1_519
; %bb.510:                              ;   in Loop: Header=BB1_82 Depth=1
	s_sext_i32_i16 s0, s80
	s_cmp_lt_i32 s0, 64
	s_mov_b64 s[0:1], -1
	s_cbranch_scc1 .LBB1_516
; %bb.511:                              ;   in Loop: Header=BB1_82 Depth=1
	s_cmp_lg_u32 s66, 64
	s_cbranch_scc0 .LBB1_513
; %bb.512:                              ;   in Loop: Header=BB1_82 Depth=1
	s_add_u32 s8, s36, 0x1000
	s_addc_u32 s9, s37, 0
	s_getpc_b64 s[0:1]
	s_add_u32 s0, s0, _Z48ncclDevFunc_ReduceScatter_RING_LL_Prod_f32_0_0_2v@rel32@lo+4
	s_addc_u32 s1, s1, _Z48ncclDevFunc_ReduceScatter_RING_LL_Prod_f32_0_0_2v@rel32@hi+12
	s_mov_b64 s[4:5], s[48:49]
	s_mov_b64 s[6:7], s[38:39]
	s_mov_b64 s[10:11], s[34:35]
	s_mov_b32 s12, s55
	s_mov_b32 s13, s54
	;; [unrolled: 1-line block ×3, first 2 shown]
	v_mov_b32_e32 v31, v40
	s_swappc_b64 s[30:31], s[0:1]
	s_mov_b64 s[0:1], 0
.LBB1_513:                              ;   in Loop: Header=BB1_82 Depth=1
	s_andn2_b64 vcc, exec, s[0:1]
	s_cbranch_vccnz .LBB1_515
; %bb.514:                              ;   in Loop: Header=BB1_82 Depth=1
	s_add_u32 s8, s36, 0x1000
	s_addc_u32 s9, s37, 0
	s_getpc_b64 s[0:1]
	s_add_u32 s0, s0, _Z48ncclDevFunc_ReduceScatter_RING_LL_Prod_f16_0_0_2v@rel32@lo+4
	s_addc_u32 s1, s1, _Z48ncclDevFunc_ReduceScatter_RING_LL_Prod_f16_0_0_2v@rel32@hi+12
	s_mov_b64 s[4:5], s[48:49]
	s_mov_b64 s[6:7], s[38:39]
	s_mov_b64 s[10:11], s[34:35]
	s_mov_b32 s12, s55
	s_mov_b32 s13, s54
	;; [unrolled: 1-line block ×3, first 2 shown]
	v_mov_b32_e32 v31, v40
	s_swappc_b64 s[30:31], s[0:1]
.LBB1_515:                              ;   in Loop: Header=BB1_82 Depth=1
	s_mov_b64 s[0:1], 0
.LBB1_516:                              ;   in Loop: Header=BB1_82 Depth=1
	s_andn2_b64 vcc, exec, s[0:1]
	s_cbranch_vccnz .LBB1_518
; %bb.517:                              ;   in Loop: Header=BB1_82 Depth=1
	s_add_u32 s8, s36, 0x1000
	s_addc_u32 s9, s37, 0
	s_getpc_b64 s[0:1]
	s_add_u32 s0, s0, _Z48ncclDevFunc_ReduceScatter_RING_LL_Prod_u64_0_0_2v@rel32@lo+4
	s_addc_u32 s1, s1, _Z48ncclDevFunc_ReduceScatter_RING_LL_Prod_u64_0_0_2v@rel32@hi+12
	s_mov_b64 s[4:5], s[48:49]
	s_mov_b64 s[6:7], s[38:39]
	;; [unrolled: 1-line block ×3, first 2 shown]
	s_mov_b32 s12, s55
	s_mov_b32 s13, s54
	;; [unrolled: 1-line block ×3, first 2 shown]
	v_mov_b32_e32 v31, v40
	s_swappc_b64 s[30:31], s[0:1]
.LBB1_518:                              ;   in Loop: Header=BB1_82 Depth=1
	s_mov_b64 s[0:1], 0
.LBB1_519:                              ;   in Loop: Header=BB1_82 Depth=1
	s_and_b64 vcc, exec, s[0:1]
	s_cbranch_vccz .LBB1_528
; %bb.520:                              ;   in Loop: Header=BB1_82 Depth=1
	s_sext_i32_i16 s0, s80
	s_cmp_lt_i32 s0, 61
	s_mov_b64 s[0:1], -1
	s_cbranch_scc1 .LBB1_526
; %bb.521:                              ;   in Loop: Header=BB1_82 Depth=1
	s_cmp_lg_u32 s66, 61
	s_cbranch_scc0 .LBB1_523
; %bb.522:                              ;   in Loop: Header=BB1_82 Depth=1
	s_add_u32 s8, s36, 0x1000
	s_addc_u32 s9, s37, 0
	s_getpc_b64 s[0:1]
	s_add_u32 s0, s0, _Z48ncclDevFunc_ReduceScatter_RING_LL_Prod_u32_0_0_2v@rel32@lo+4
	s_addc_u32 s1, s1, _Z48ncclDevFunc_ReduceScatter_RING_LL_Prod_u32_0_0_2v@rel32@hi+12
	s_mov_b64 s[4:5], s[48:49]
	s_mov_b64 s[6:7], s[38:39]
	;; [unrolled: 1-line block ×3, first 2 shown]
	s_mov_b32 s12, s55
	s_mov_b32 s13, s54
	s_mov_b32 s14, s33
	v_mov_b32_e32 v31, v40
	s_swappc_b64 s[30:31], s[0:1]
	s_mov_b64 s[0:1], 0
.LBB1_523:                              ;   in Loop: Header=BB1_82 Depth=1
	s_andn2_b64 vcc, exec, s[0:1]
	s_cbranch_vccnz .LBB1_525
; %bb.524:                              ;   in Loop: Header=BB1_82 Depth=1
	s_add_u32 s8, s36, 0x1000
	s_addc_u32 s9, s37, 0
	s_getpc_b64 s[0:1]
	s_add_u32 s0, s0, _Z47ncclDevFunc_ReduceScatter_RING_LL_Prod_u8_0_0_2v@rel32@lo+4
	s_addc_u32 s1, s1, _Z47ncclDevFunc_ReduceScatter_RING_LL_Prod_u8_0_0_2v@rel32@hi+12
	s_mov_b64 s[4:5], s[48:49]
	s_mov_b64 s[6:7], s[38:39]
	;; [unrolled: 1-line block ×3, first 2 shown]
	s_mov_b32 s12, s55
	s_mov_b32 s13, s54
	;; [unrolled: 1-line block ×3, first 2 shown]
	v_mov_b32_e32 v31, v40
	s_swappc_b64 s[30:31], s[0:1]
.LBB1_525:                              ;   in Loop: Header=BB1_82 Depth=1
	s_mov_b64 s[0:1], 0
.LBB1_526:                              ;   in Loop: Header=BB1_82 Depth=1
	s_andn2_b64 vcc, exec, s[0:1]
	s_cbranch_vccnz .LBB1_528
; %bb.527:                              ;   in Loop: Header=BB1_82 Depth=1
	s_add_u32 s8, s36, 0x1000
	s_addc_u32 s9, s37, 0
	s_getpc_b64 s[0:1]
	s_add_u32 s0, s0, _Z50ncclDevFunc_ReduceScatter_RING_LL_Sum_f8e5m2_0_0_2v@rel32@lo+4
	s_addc_u32 s1, s1, _Z50ncclDevFunc_ReduceScatter_RING_LL_Sum_f8e5m2_0_0_2v@rel32@hi+12
	s_mov_b64 s[4:5], s[48:49]
	s_mov_b64 s[6:7], s[38:39]
	s_mov_b64 s[10:11], s[34:35]
	s_mov_b32 s12, s55
	s_mov_b32 s13, s54
	;; [unrolled: 1-line block ×3, first 2 shown]
	v_mov_b32_e32 v31, v40
	s_swappc_b64 s[30:31], s[0:1]
.LBB1_528:                              ;   in Loop: Header=BB1_82 Depth=1
	s_mov_b64 s[0:1], 0
.LBB1_529:                              ;   in Loop: Header=BB1_82 Depth=1
	s_andn2_b64 vcc, exec, s[0:1]
	s_cbranch_vccnz .LBB1_545
; %bb.530:                              ;   in Loop: Header=BB1_82 Depth=1
	s_cmp_gt_u32 s66, 56
	s_mov_b64 s[0:1], -1
	s_cbranch_scc0 .LBB1_540
; %bb.531:                              ;   in Loop: Header=BB1_82 Depth=1
	s_sext_i32_i16 s0, s80
	s_cmp_lt_i32 s0, 58
	s_mov_b64 s[0:1], -1
	s_cbranch_scc1 .LBB1_537
; %bb.532:                              ;   in Loop: Header=BB1_82 Depth=1
	s_cmp_lg_u32 s66, 58
	s_cbranch_scc0 .LBB1_534
; %bb.533:                              ;   in Loop: Header=BB1_82 Depth=1
	s_add_u32 s8, s36, 0x1000
	s_addc_u32 s9, s37, 0
	s_getpc_b64 s[0:1]
	s_add_u32 s0, s0, _Z50ncclDevFunc_ReduceScatter_RING_LL_Sum_f8e4m3_0_0_2v@rel32@lo+4
	s_addc_u32 s1, s1, _Z50ncclDevFunc_ReduceScatter_RING_LL_Sum_f8e4m3_0_0_2v@rel32@hi+12
	s_mov_b64 s[4:5], s[48:49]
	s_mov_b64 s[6:7], s[38:39]
	;; [unrolled: 1-line block ×3, first 2 shown]
	s_mov_b32 s12, s55
	s_mov_b32 s13, s54
	;; [unrolled: 1-line block ×3, first 2 shown]
	v_mov_b32_e32 v31, v40
	s_swappc_b64 s[30:31], s[0:1]
	s_mov_b64 s[0:1], 0
.LBB1_534:                              ;   in Loop: Header=BB1_82 Depth=1
	s_andn2_b64 vcc, exec, s[0:1]
	s_cbranch_vccnz .LBB1_536
; %bb.535:                              ;   in Loop: Header=BB1_82 Depth=1
	s_add_u32 s8, s36, 0x1000
	s_addc_u32 s9, s37, 0
	s_getpc_b64 s[0:1]
	s_add_u32 s0, s0, _Z48ncclDevFunc_ReduceScatter_RING_LL_Sum_bf16_0_0_2v@rel32@lo+4
	s_addc_u32 s1, s1, _Z48ncclDevFunc_ReduceScatter_RING_LL_Sum_bf16_0_0_2v@rel32@hi+12
	s_mov_b64 s[4:5], s[48:49]
	s_mov_b64 s[6:7], s[38:39]
	;; [unrolled: 1-line block ×3, first 2 shown]
	s_mov_b32 s12, s55
	s_mov_b32 s13, s54
	;; [unrolled: 1-line block ×3, first 2 shown]
	v_mov_b32_e32 v31, v40
	s_swappc_b64 s[30:31], s[0:1]
.LBB1_536:                              ;   in Loop: Header=BB1_82 Depth=1
	s_mov_b64 s[0:1], 0
.LBB1_537:                              ;   in Loop: Header=BB1_82 Depth=1
	s_andn2_b64 vcc, exec, s[0:1]
	s_cbranch_vccnz .LBB1_539
; %bb.538:                              ;   in Loop: Header=BB1_82 Depth=1
	s_add_u32 s8, s36, 0x1000
	s_addc_u32 s9, s37, 0
	s_getpc_b64 s[0:1]
	s_add_u32 s0, s0, _Z47ncclDevFunc_ReduceScatter_RING_LL_Sum_f64_0_0_2v@rel32@lo+4
	s_addc_u32 s1, s1, _Z47ncclDevFunc_ReduceScatter_RING_LL_Sum_f64_0_0_2v@rel32@hi+12
	s_mov_b64 s[4:5], s[48:49]
	s_mov_b64 s[6:7], s[38:39]
	;; [unrolled: 1-line block ×3, first 2 shown]
	s_mov_b32 s12, s55
	s_mov_b32 s13, s54
	;; [unrolled: 1-line block ×3, first 2 shown]
	v_mov_b32_e32 v31, v40
	s_swappc_b64 s[30:31], s[0:1]
.LBB1_539:                              ;   in Loop: Header=BB1_82 Depth=1
	s_mov_b64 s[0:1], 0
.LBB1_540:                              ;   in Loop: Header=BB1_82 Depth=1
	s_and_b64 vcc, exec, s[0:1]
	s_cbranch_vccz .LBB1_545
; %bb.541:                              ;   in Loop: Header=BB1_82 Depth=1
	s_cmp_eq_u32 s66, 56
	s_mov_b64 s[0:1], -1
	s_cbranch_scc1 .LBB1_543
; %bb.542:                              ;   in Loop: Header=BB1_82 Depth=1
	s_add_u32 s8, s36, 0x1000
	s_addc_u32 s9, s37, 0
	s_getpc_b64 s[0:1]
	s_add_u32 s0, s0, _Z47ncclDevFunc_ReduceScatter_RING_LL_Sum_f16_0_0_2v@rel32@lo+4
	s_addc_u32 s1, s1, _Z47ncclDevFunc_ReduceScatter_RING_LL_Sum_f16_0_0_2v@rel32@hi+12
	s_mov_b64 s[4:5], s[48:49]
	s_mov_b64 s[6:7], s[38:39]
	;; [unrolled: 1-line block ×3, first 2 shown]
	s_mov_b32 s12, s55
	s_mov_b32 s13, s54
	;; [unrolled: 1-line block ×3, first 2 shown]
	v_mov_b32_e32 v31, v40
	s_swappc_b64 s[30:31], s[0:1]
	s_mov_b64 s[0:1], 0
.LBB1_543:                              ;   in Loop: Header=BB1_82 Depth=1
	s_andn2_b64 vcc, exec, s[0:1]
	s_cbranch_vccnz .LBB1_545
; %bb.544:                              ;   in Loop: Header=BB1_82 Depth=1
	s_add_u32 s8, s36, 0x1000
	s_addc_u32 s9, s37, 0
	s_getpc_b64 s[0:1]
	s_add_u32 s0, s0, _Z47ncclDevFunc_ReduceScatter_RING_LL_Sum_f32_0_0_2v@rel32@lo+4
	s_addc_u32 s1, s1, _Z47ncclDevFunc_ReduceScatter_RING_LL_Sum_f32_0_0_2v@rel32@hi+12
	s_mov_b64 s[4:5], s[48:49]
	s_mov_b64 s[6:7], s[38:39]
	;; [unrolled: 1-line block ×3, first 2 shown]
	s_mov_b32 s12, s55
	s_mov_b32 s13, s54
	s_mov_b32 s14, s33
	v_mov_b32_e32 v31, v40
	s_swappc_b64 s[30:31], s[0:1]
.LBB1_545:                              ;   in Loop: Header=BB1_82 Depth=1
	s_mov_b64 s[0:1], 0
.LBB1_546:                              ;   in Loop: Header=BB1_82 Depth=1
	s_andn2_b64 vcc, exec, s[0:1]
	s_cbranch_vccnz .LBB1_576
; %bb.547:                              ;   in Loop: Header=BB1_82 Depth=1
	s_cmp_gt_u32 s66, 48
	s_mov_b64 s[0:1], -1
	s_cbranch_scc0 .LBB1_564
; %bb.548:                              ;   in Loop: Header=BB1_82 Depth=1
	s_cmp_gt_u32 s66, 51
	s_cbranch_scc0 .LBB1_558
; %bb.549:                              ;   in Loop: Header=BB1_82 Depth=1
	s_sext_i32_i16 s0, s80
	s_cmp_lt_i32 s0, 53
	s_mov_b64 s[0:1], -1
	s_cbranch_scc1 .LBB1_555
; %bb.550:                              ;   in Loop: Header=BB1_82 Depth=1
	s_cmp_lg_u32 s66, 53
	s_cbranch_scc0 .LBB1_552
; %bb.551:                              ;   in Loop: Header=BB1_82 Depth=1
	s_add_u32 s8, s36, 0x1000
	s_addc_u32 s9, s37, 0
	s_getpc_b64 s[0:1]
	s_add_u32 s0, s0, _Z47ncclDevFunc_ReduceScatter_RING_LL_Sum_u64_0_0_2v@rel32@lo+4
	s_addc_u32 s1, s1, _Z47ncclDevFunc_ReduceScatter_RING_LL_Sum_u64_0_0_2v@rel32@hi+12
	s_mov_b64 s[4:5], s[48:49]
	s_mov_b64 s[6:7], s[38:39]
	;; [unrolled: 1-line block ×3, first 2 shown]
	s_mov_b32 s12, s55
	s_mov_b32 s13, s54
	;; [unrolled: 1-line block ×3, first 2 shown]
	v_mov_b32_e32 v31, v40
	s_swappc_b64 s[30:31], s[0:1]
	s_mov_b64 s[0:1], 0
.LBB1_552:                              ;   in Loop: Header=BB1_82 Depth=1
	s_andn2_b64 vcc, exec, s[0:1]
	s_cbranch_vccnz .LBB1_554
; %bb.553:                              ;   in Loop: Header=BB1_82 Depth=1
	s_add_u32 s8, s36, 0x1000
	s_addc_u32 s9, s37, 0
	s_getpc_b64 s[0:1]
	s_add_u32 s0, s0, _Z47ncclDevFunc_ReduceScatter_RING_LL_Sum_u32_0_0_2v@rel32@lo+4
	s_addc_u32 s1, s1, _Z47ncclDevFunc_ReduceScatter_RING_LL_Sum_u32_0_0_2v@rel32@hi+12
	s_mov_b64 s[4:5], s[48:49]
	s_mov_b64 s[6:7], s[38:39]
	;; [unrolled: 1-line block ×3, first 2 shown]
	s_mov_b32 s12, s55
	s_mov_b32 s13, s54
	;; [unrolled: 1-line block ×3, first 2 shown]
	v_mov_b32_e32 v31, v40
	s_swappc_b64 s[30:31], s[0:1]
.LBB1_554:                              ;   in Loop: Header=BB1_82 Depth=1
	s_mov_b64 s[0:1], 0
.LBB1_555:                              ;   in Loop: Header=BB1_82 Depth=1
	s_andn2_b64 vcc, exec, s[0:1]
	s_cbranch_vccnz .LBB1_557
; %bb.556:                              ;   in Loop: Header=BB1_82 Depth=1
	s_add_u32 s8, s36, 0x1000
	s_addc_u32 s9, s37, 0
	s_getpc_b64 s[0:1]
	s_add_u32 s0, s0, _Z46ncclDevFunc_ReduceScatter_RING_LL_Sum_u8_0_0_2v@rel32@lo+4
	s_addc_u32 s1, s1, _Z46ncclDevFunc_ReduceScatter_RING_LL_Sum_u8_0_0_2v@rel32@hi+12
	s_mov_b64 s[4:5], s[48:49]
	s_mov_b64 s[6:7], s[38:39]
	s_mov_b64 s[10:11], s[34:35]
	s_mov_b32 s12, s55
	s_mov_b32 s13, s54
	s_mov_b32 s14, s33
	v_mov_b32_e32 v31, v40
	s_swappc_b64 s[30:31], s[0:1]
.LBB1_557:                              ;   in Loop: Header=BB1_82 Depth=1
	s_mov_b64 s[0:1], 0
.LBB1_558:                              ;   in Loop: Header=BB1_82 Depth=1
	s_and_b64 vcc, exec, s[0:1]
	s_cbranch_vccz .LBB1_563
; %bb.559:                              ;   in Loop: Header=BB1_82 Depth=1
	s_cmp_lg_u32 s66, 49
	s_mov_b64 s[0:1], -1
	s_cbranch_scc0 .LBB1_561
; %bb.560:                              ;   in Loop: Header=BB1_82 Depth=1
	s_add_u32 s8, s36, 0x1000
	s_addc_u32 s9, s37, 0
	s_getpc_b64 s[0:1]
	s_add_u32 s0, s0, _Z45ncclDevFunc_AllGather_PAT_SIMPLE_Sum_i8_0_0_2v@rel32@lo+4
	s_addc_u32 s1, s1, _Z45ncclDevFunc_AllGather_PAT_SIMPLE_Sum_i8_0_0_2v@rel32@hi+12
	s_mov_b64 s[4:5], s[48:49]
	s_mov_b64 s[6:7], s[38:39]
	;; [unrolled: 1-line block ×3, first 2 shown]
	s_mov_b32 s12, s55
	s_mov_b32 s13, s54
	;; [unrolled: 1-line block ×3, first 2 shown]
	v_mov_b32_e32 v31, v40
	s_swappc_b64 s[30:31], s[0:1]
	s_mov_b64 s[0:1], 0
.LBB1_561:                              ;   in Loop: Header=BB1_82 Depth=1
	s_andn2_b64 vcc, exec, s[0:1]
	s_cbranch_vccnz .LBB1_563
; %bb.562:                              ;   in Loop: Header=BB1_82 Depth=1
	s_add_u32 s8, s36, 0x1000
	s_addc_u32 s9, s37, 0
	s_getpc_b64 s[0:1]
	s_add_u32 s0, s0, _Z41ncclDevFunc_AllGather_PAT_LL_Sum_i8_0_0_2v@rel32@lo+4
	s_addc_u32 s1, s1, _Z41ncclDevFunc_AllGather_PAT_LL_Sum_i8_0_0_2v@rel32@hi+12
	s_mov_b64 s[4:5], s[48:49]
	s_mov_b64 s[6:7], s[38:39]
	s_mov_b64 s[10:11], s[34:35]
	s_mov_b32 s12, s55
	s_mov_b32 s13, s54
	;; [unrolled: 1-line block ×3, first 2 shown]
	v_mov_b32_e32 v31, v40
	s_swappc_b64 s[30:31], s[0:1]
.LBB1_563:                              ;   in Loop: Header=BB1_82 Depth=1
	s_mov_b64 s[0:1], 0
.LBB1_564:                              ;   in Loop: Header=BB1_82 Depth=1
	s_andn2_b64 vcc, exec, s[0:1]
	s_cbranch_vccnz .LBB1_576
; %bb.565:                              ;   in Loop: Header=BB1_82 Depth=1
	s_cmp_gt_u32 s66, 45
	s_mov_b64 s[0:1], -1
	s_cbranch_scc0 .LBB1_571
; %bb.566:                              ;   in Loop: Header=BB1_82 Depth=1
	s_cmp_lg_u32 s66, 46
	s_cbranch_scc0 .LBB1_568
; %bb.567:                              ;   in Loop: Header=BB1_82 Depth=1
	s_add_u32 s8, s36, 0x1000
	s_addc_u32 s9, s37, 0
	s_getpc_b64 s[0:1]
	s_add_u32 s0, s0, _Z46ncclDevFunc_AllGather_RING_SIMPLE_Sum_i8_0_0_2v@rel32@lo+4
	s_addc_u32 s1, s1, _Z46ncclDevFunc_AllGather_RING_SIMPLE_Sum_i8_0_0_2v@rel32@hi+12
	s_mov_b64 s[4:5], s[48:49]
	s_mov_b64 s[6:7], s[38:39]
	;; [unrolled: 1-line block ×3, first 2 shown]
	s_mov_b32 s12, s55
	s_mov_b32 s13, s54
	;; [unrolled: 1-line block ×3, first 2 shown]
	v_mov_b32_e32 v31, v40
	s_swappc_b64 s[30:31], s[0:1]
	s_mov_b64 s[0:1], 0
.LBB1_568:                              ;   in Loop: Header=BB1_82 Depth=1
	s_andn2_b64 vcc, exec, s[0:1]
	s_cbranch_vccnz .LBB1_570
; %bb.569:                              ;   in Loop: Header=BB1_82 Depth=1
	s_add_u32 s8, s36, 0x1000
	s_addc_u32 s9, s37, 0
	s_getpc_b64 s[0:1]
	s_add_u32 s0, s0, _Z42ncclDevFunc_AllGather_RING_LL_Sum_i8_0_0_2v@rel32@lo+4
	s_addc_u32 s1, s1, _Z42ncclDevFunc_AllGather_RING_LL_Sum_i8_0_0_2v@rel32@hi+12
	s_mov_b64 s[4:5], s[48:49]
	s_mov_b64 s[6:7], s[38:39]
	;; [unrolled: 1-line block ×3, first 2 shown]
	s_mov_b32 s12, s55
	s_mov_b32 s13, s54
	;; [unrolled: 1-line block ×3, first 2 shown]
	v_mov_b32_e32 v31, v40
	s_swappc_b64 s[30:31], s[0:1]
.LBB1_570:                              ;   in Loop: Header=BB1_82 Depth=1
	s_mov_b64 s[0:1], 0
.LBB1_571:                              ;   in Loop: Header=BB1_82 Depth=1
	s_andn2_b64 vcc, exec, s[0:1]
	s_cbranch_vccnz .LBB1_576
; %bb.572:                              ;   in Loop: Header=BB1_82 Depth=1
	s_cmp_eq_u32 s66, 45
	s_mov_b64 s[0:1], -1
	s_cbranch_scc1 .LBB1_574
; %bb.573:                              ;   in Loop: Header=BB1_82 Depth=1
	s_add_u32 s8, s36, 0x1000
	s_addc_u32 s9, s37, 0
	s_getpc_b64 s[0:1]
	s_add_u32 s0, s0, _Z51ncclDevFunc_Reduce_RING_SIMPLE_SumPostDiv_u32_0_0_2v@rel32@lo+4
	s_addc_u32 s1, s1, _Z51ncclDevFunc_Reduce_RING_SIMPLE_SumPostDiv_u32_0_0_2v@rel32@hi+12
	s_mov_b64 s[4:5], s[48:49]
	s_mov_b64 s[6:7], s[38:39]
	;; [unrolled: 1-line block ×3, first 2 shown]
	s_mov_b32 s12, s55
	s_mov_b32 s13, s54
	;; [unrolled: 1-line block ×3, first 2 shown]
	v_mov_b32_e32 v31, v40
	s_swappc_b64 s[30:31], s[0:1]
	s_mov_b64 s[0:1], 0
.LBB1_574:                              ;   in Loop: Header=BB1_82 Depth=1
	s_andn2_b64 vcc, exec, s[0:1]
	s_cbranch_vccnz .LBB1_576
; %bb.575:                              ;   in Loop: Header=BB1_82 Depth=1
	s_add_u32 s8, s36, 0x1000
	s_addc_u32 s9, s37, 0
	s_getpc_b64 s[0:1]
	s_add_u32 s0, s0, _Z51ncclDevFunc_Reduce_RING_SIMPLE_SumPostDiv_u64_0_0_2v@rel32@lo+4
	s_addc_u32 s1, s1, _Z51ncclDevFunc_Reduce_RING_SIMPLE_SumPostDiv_u64_0_0_2v@rel32@hi+12
	s_mov_b64 s[4:5], s[48:49]
	s_mov_b64 s[6:7], s[38:39]
	;; [unrolled: 1-line block ×3, first 2 shown]
	s_mov_b32 s12, s55
	s_mov_b32 s13, s54
	;; [unrolled: 1-line block ×3, first 2 shown]
	v_mov_b32_e32 v31, v40
	s_swappc_b64 s[30:31], s[0:1]
.LBB1_576:                              ;   in Loop: Header=BB1_82 Depth=1
	s_mov_b64 s[0:1], 0
.LBB1_577:                              ;   in Loop: Header=BB1_82 Depth=1
	s_andn2_b64 vcc, exec, s[0:1]
	s_cbranch_vccnz .LBB1_732
; %bb.578:                              ;   in Loop: Header=BB1_82 Depth=1
	s_cmp_gt_u32 s66, 21
	s_mov_b64 s[0:1], -1
	s_cbranch_scc0 .LBB1_657
; %bb.579:                              ;   in Loop: Header=BB1_82 Depth=1
	s_cmp_gt_u32 s66, 32
	s_cbranch_scc0 .LBB1_618
; %bb.580:                              ;   in Loop: Header=BB1_82 Depth=1
	s_cmp_gt_u32 s66, 37
	;; [unrolled: 3-line block ×3, first 2 shown]
	s_cbranch_scc0 .LBB1_591
; %bb.582:                              ;   in Loop: Header=BB1_82 Depth=1
	s_sext_i32_i16 s0, s80
	s_cmp_lt_i32 s0, 42
	s_mov_b64 s[0:1], -1
	s_cbranch_scc1 .LBB1_588
; %bb.583:                              ;   in Loop: Header=BB1_82 Depth=1
	s_cmp_lg_u32 s66, 42
	s_cbranch_scc0 .LBB1_585
; %bb.584:                              ;   in Loop: Header=BB1_82 Depth=1
	s_add_u32 s8, s36, 0x1000
	s_addc_u32 s9, s37, 0
	s_getpc_b64 s[0:1]
	s_add_u32 s0, s0, _Z50ncclDevFunc_Reduce_RING_SIMPLE_SumPostDiv_u8_0_0_2v@rel32@lo+4
	s_addc_u32 s1, s1, _Z50ncclDevFunc_Reduce_RING_SIMPLE_SumPostDiv_u8_0_0_2v@rel32@hi+12
	s_mov_b64 s[4:5], s[48:49]
	s_mov_b64 s[6:7], s[38:39]
	;; [unrolled: 1-line block ×3, first 2 shown]
	s_mov_b32 s12, s55
	s_mov_b32 s13, s54
	;; [unrolled: 1-line block ×3, first 2 shown]
	v_mov_b32_e32 v31, v40
	s_swappc_b64 s[30:31], s[0:1]
	s_mov_b64 s[0:1], 0
.LBB1_585:                              ;   in Loop: Header=BB1_82 Depth=1
	s_andn2_b64 vcc, exec, s[0:1]
	s_cbranch_vccnz .LBB1_587
; %bb.586:                              ;   in Loop: Header=BB1_82 Depth=1
	s_add_u32 s8, s36, 0x1000
	s_addc_u32 s9, s37, 0
	s_getpc_b64 s[0:1]
	s_add_u32 s0, s0, _Z53ncclDevFunc_Reduce_RING_SIMPLE_PreMulSum_f8e5m2_0_0_2v@rel32@lo+4
	s_addc_u32 s1, s1, _Z53ncclDevFunc_Reduce_RING_SIMPLE_PreMulSum_f8e5m2_0_0_2v@rel32@hi+12
	s_mov_b64 s[4:5], s[48:49]
	s_mov_b64 s[6:7], s[38:39]
	;; [unrolled: 1-line block ×3, first 2 shown]
	s_mov_b32 s12, s55
	s_mov_b32 s13, s54
	;; [unrolled: 1-line block ×3, first 2 shown]
	v_mov_b32_e32 v31, v40
	s_swappc_b64 s[30:31], s[0:1]
.LBB1_587:                              ;   in Loop: Header=BB1_82 Depth=1
	s_mov_b64 s[0:1], 0
.LBB1_588:                              ;   in Loop: Header=BB1_82 Depth=1
	s_andn2_b64 vcc, exec, s[0:1]
	s_cbranch_vccnz .LBB1_590
; %bb.589:                              ;   in Loop: Header=BB1_82 Depth=1
	s_add_u32 s8, s36, 0x1000
	s_addc_u32 s9, s37, 0
	s_getpc_b64 s[0:1]
	s_add_u32 s0, s0, _Z53ncclDevFunc_Reduce_RING_SIMPLE_PreMulSum_f8e4m3_0_0_2v@rel32@lo+4
	s_addc_u32 s1, s1, _Z53ncclDevFunc_Reduce_RING_SIMPLE_PreMulSum_f8e4m3_0_0_2v@rel32@hi+12
	s_mov_b64 s[4:5], s[48:49]
	s_mov_b64 s[6:7], s[38:39]
	;; [unrolled: 1-line block ×3, first 2 shown]
	s_mov_b32 s12, s55
	s_mov_b32 s13, s54
	;; [unrolled: 1-line block ×3, first 2 shown]
	v_mov_b32_e32 v31, v40
	s_swappc_b64 s[30:31], s[0:1]
.LBB1_590:                              ;   in Loop: Header=BB1_82 Depth=1
	s_mov_b64 s[0:1], 0
.LBB1_591:                              ;   in Loop: Header=BB1_82 Depth=1
	s_and_b64 vcc, exec, s[0:1]
	s_cbranch_vccz .LBB1_600
; %bb.592:                              ;   in Loop: Header=BB1_82 Depth=1
	s_sext_i32_i16 s0, s80
	s_cmp_lt_i32 s0, 39
	s_mov_b64 s[0:1], -1
	s_cbranch_scc1 .LBB1_598
; %bb.593:                              ;   in Loop: Header=BB1_82 Depth=1
	s_cmp_lg_u32 s66, 39
	s_cbranch_scc0 .LBB1_595
; %bb.594:                              ;   in Loop: Header=BB1_82 Depth=1
	s_add_u32 s8, s36, 0x1000
	s_addc_u32 s9, s37, 0
	s_getpc_b64 s[0:1]
	s_add_u32 s0, s0, _Z51ncclDevFunc_Reduce_RING_SIMPLE_PreMulSum_bf16_0_1_2v@rel32@lo+4
	s_addc_u32 s1, s1, _Z51ncclDevFunc_Reduce_RING_SIMPLE_PreMulSum_bf16_0_1_2v@rel32@hi+12
	s_mov_b64 s[4:5], s[48:49]
	s_mov_b64 s[6:7], s[38:39]
	;; [unrolled: 1-line block ×3, first 2 shown]
	s_mov_b32 s12, s55
	s_mov_b32 s13, s54
	;; [unrolled: 1-line block ×3, first 2 shown]
	v_mov_b32_e32 v31, v40
	s_swappc_b64 s[30:31], s[0:1]
	s_mov_b64 s[0:1], 0
.LBB1_595:                              ;   in Loop: Header=BB1_82 Depth=1
	s_andn2_b64 vcc, exec, s[0:1]
	s_cbranch_vccnz .LBB1_597
; %bb.596:                              ;   in Loop: Header=BB1_82 Depth=1
	s_add_u32 s8, s36, 0x1000
	s_addc_u32 s9, s37, 0
	s_getpc_b64 s[0:1]
	s_add_u32 s0, s0, _Z51ncclDevFunc_Reduce_RING_SIMPLE_PreMulSum_bf16_0_0_2v@rel32@lo+4
	s_addc_u32 s1, s1, _Z51ncclDevFunc_Reduce_RING_SIMPLE_PreMulSum_bf16_0_0_2v@rel32@hi+12
	s_mov_b64 s[4:5], s[48:49]
	s_mov_b64 s[6:7], s[38:39]
	;; [unrolled: 1-line block ×3, first 2 shown]
	s_mov_b32 s12, s55
	s_mov_b32 s13, s54
	s_mov_b32 s14, s33
	v_mov_b32_e32 v31, v40
	s_swappc_b64 s[30:31], s[0:1]
.LBB1_597:                              ;   in Loop: Header=BB1_82 Depth=1
	s_mov_b64 s[0:1], 0
.LBB1_598:                              ;   in Loop: Header=BB1_82 Depth=1
	s_andn2_b64 vcc, exec, s[0:1]
	s_cbranch_vccnz .LBB1_600
; %bb.599:                              ;   in Loop: Header=BB1_82 Depth=1
	s_add_u32 s8, s36, 0x1000
	s_addc_u32 s9, s37, 0
	s_getpc_b64 s[0:1]
	s_add_u32 s0, s0, _Z50ncclDevFunc_Reduce_RING_SIMPLE_PreMulSum_f64_0_0_2v@rel32@lo+4
	s_addc_u32 s1, s1, _Z50ncclDevFunc_Reduce_RING_SIMPLE_PreMulSum_f64_0_0_2v@rel32@hi+12
	s_mov_b64 s[4:5], s[48:49]
	s_mov_b64 s[6:7], s[38:39]
	;; [unrolled: 1-line block ×3, first 2 shown]
	s_mov_b32 s12, s55
	s_mov_b32 s13, s54
	s_mov_b32 s14, s33
	v_mov_b32_e32 v31, v40
	s_swappc_b64 s[30:31], s[0:1]
.LBB1_600:                              ;   in Loop: Header=BB1_82 Depth=1
	s_mov_b64 s[0:1], 0
.LBB1_601:                              ;   in Loop: Header=BB1_82 Depth=1
	s_andn2_b64 vcc, exec, s[0:1]
	s_cbranch_vccnz .LBB1_617
; %bb.602:                              ;   in Loop: Header=BB1_82 Depth=1
	s_cmp_gt_u32 s66, 34
	s_mov_b64 s[0:1], -1
	s_cbranch_scc0 .LBB1_612
; %bb.603:                              ;   in Loop: Header=BB1_82 Depth=1
	s_sext_i32_i16 s0, s80
	s_cmp_lt_i32 s0, 36
	s_mov_b64 s[0:1], -1
	s_cbranch_scc1 .LBB1_609
; %bb.604:                              ;   in Loop: Header=BB1_82 Depth=1
	s_cmp_lg_u32 s66, 36
	s_cbranch_scc0 .LBB1_606
; %bb.605:                              ;   in Loop: Header=BB1_82 Depth=1
	s_add_u32 s8, s36, 0x1000
	s_addc_u32 s9, s37, 0
	s_getpc_b64 s[0:1]
	s_add_u32 s0, s0, _Z50ncclDevFunc_Reduce_RING_SIMPLE_PreMulSum_f32_0_0_2v@rel32@lo+4
	s_addc_u32 s1, s1, _Z50ncclDevFunc_Reduce_RING_SIMPLE_PreMulSum_f32_0_0_2v@rel32@hi+12
	s_mov_b64 s[4:5], s[48:49]
	s_mov_b64 s[6:7], s[38:39]
	s_mov_b64 s[10:11], s[34:35]
	s_mov_b32 s12, s55
	s_mov_b32 s13, s54
	;; [unrolled: 1-line block ×3, first 2 shown]
	v_mov_b32_e32 v31, v40
	s_swappc_b64 s[30:31], s[0:1]
	s_mov_b64 s[0:1], 0
.LBB1_606:                              ;   in Loop: Header=BB1_82 Depth=1
	s_andn2_b64 vcc, exec, s[0:1]
	s_cbranch_vccnz .LBB1_608
; %bb.607:                              ;   in Loop: Header=BB1_82 Depth=1
	s_add_u32 s8, s36, 0x1000
	s_addc_u32 s9, s37, 0
	s_getpc_b64 s[0:1]
	s_add_u32 s0, s0, _Z50ncclDevFunc_Reduce_RING_SIMPLE_PreMulSum_f16_0_0_2v@rel32@lo+4
	s_addc_u32 s1, s1, _Z50ncclDevFunc_Reduce_RING_SIMPLE_PreMulSum_f16_0_0_2v@rel32@hi+12
	s_mov_b64 s[4:5], s[48:49]
	s_mov_b64 s[6:7], s[38:39]
	s_mov_b64 s[10:11], s[34:35]
	s_mov_b32 s12, s55
	s_mov_b32 s13, s54
	;; [unrolled: 1-line block ×3, first 2 shown]
	v_mov_b32_e32 v31, v40
	s_swappc_b64 s[30:31], s[0:1]
.LBB1_608:                              ;   in Loop: Header=BB1_82 Depth=1
	s_mov_b64 s[0:1], 0
.LBB1_609:                              ;   in Loop: Header=BB1_82 Depth=1
	s_andn2_b64 vcc, exec, s[0:1]
	s_cbranch_vccnz .LBB1_611
; %bb.610:                              ;   in Loop: Header=BB1_82 Depth=1
	s_add_u32 s8, s36, 0x1000
	s_addc_u32 s9, s37, 0
	s_getpc_b64 s[0:1]
	s_add_u32 s0, s0, _Z50ncclDevFunc_Reduce_RING_SIMPLE_PreMulSum_u64_0_0_2v@rel32@lo+4
	s_addc_u32 s1, s1, _Z50ncclDevFunc_Reduce_RING_SIMPLE_PreMulSum_u64_0_0_2v@rel32@hi+12
	s_mov_b64 s[4:5], s[48:49]
	s_mov_b64 s[6:7], s[38:39]
	;; [unrolled: 1-line block ×3, first 2 shown]
	s_mov_b32 s12, s55
	s_mov_b32 s13, s54
	;; [unrolled: 1-line block ×3, first 2 shown]
	v_mov_b32_e32 v31, v40
	s_swappc_b64 s[30:31], s[0:1]
.LBB1_611:                              ;   in Loop: Header=BB1_82 Depth=1
	s_mov_b64 s[0:1], 0
.LBB1_612:                              ;   in Loop: Header=BB1_82 Depth=1
	s_and_b64 vcc, exec, s[0:1]
	s_cbranch_vccz .LBB1_617
; %bb.613:                              ;   in Loop: Header=BB1_82 Depth=1
	s_cmp_eq_u32 s66, 34
	s_mov_b64 s[0:1], -1
	s_cbranch_scc1 .LBB1_615
; %bb.614:                              ;   in Loop: Header=BB1_82 Depth=1
	s_add_u32 s8, s36, 0x1000
	s_addc_u32 s9, s37, 0
	s_getpc_b64 s[0:1]
	s_add_u32 s0, s0, _Z49ncclDevFunc_Reduce_RING_SIMPLE_PreMulSum_u8_0_0_2v@rel32@lo+4
	s_addc_u32 s1, s1, _Z49ncclDevFunc_Reduce_RING_SIMPLE_PreMulSum_u8_0_0_2v@rel32@hi+12
	s_mov_b64 s[4:5], s[48:49]
	s_mov_b64 s[6:7], s[38:39]
	;; [unrolled: 1-line block ×3, first 2 shown]
	s_mov_b32 s12, s55
	s_mov_b32 s13, s54
	;; [unrolled: 1-line block ×3, first 2 shown]
	v_mov_b32_e32 v31, v40
	s_swappc_b64 s[30:31], s[0:1]
	s_mov_b64 s[0:1], 0
.LBB1_615:                              ;   in Loop: Header=BB1_82 Depth=1
	s_andn2_b64 vcc, exec, s[0:1]
	s_cbranch_vccnz .LBB1_617
; %bb.616:                              ;   in Loop: Header=BB1_82 Depth=1
	s_add_u32 s8, s36, 0x1000
	s_addc_u32 s9, s37, 0
	s_getpc_b64 s[0:1]
	s_add_u32 s0, s0, _Z50ncclDevFunc_Reduce_RING_SIMPLE_PreMulSum_u32_0_0_2v@rel32@lo+4
	s_addc_u32 s1, s1, _Z50ncclDevFunc_Reduce_RING_SIMPLE_PreMulSum_u32_0_0_2v@rel32@hi+12
	s_mov_b64 s[4:5], s[48:49]
	s_mov_b64 s[6:7], s[38:39]
	s_mov_b64 s[10:11], s[34:35]
	s_mov_b32 s12, s55
	s_mov_b32 s13, s54
	;; [unrolled: 1-line block ×3, first 2 shown]
	v_mov_b32_e32 v31, v40
	s_swappc_b64 s[30:31], s[0:1]
.LBB1_617:                              ;   in Loop: Header=BB1_82 Depth=1
	s_mov_b64 s[0:1], 0
.LBB1_618:                              ;   in Loop: Header=BB1_82 Depth=1
	s_andn2_b64 vcc, exec, s[0:1]
	s_cbranch_vccnz .LBB1_656
; %bb.619:                              ;   in Loop: Header=BB1_82 Depth=1
	s_cmp_gt_u32 s66, 26
	s_mov_b64 s[0:1], -1
	s_cbranch_scc0 .LBB1_640
; %bb.620:                              ;   in Loop: Header=BB1_82 Depth=1
	s_cmp_gt_u32 s66, 29
	s_cbranch_scc0 .LBB1_630
; %bb.621:                              ;   in Loop: Header=BB1_82 Depth=1
	s_sext_i32_i16 s0, s80
	s_cmp_lt_i32 s0, 31
	s_mov_b64 s[0:1], -1
	s_cbranch_scc1 .LBB1_627
; %bb.622:                              ;   in Loop: Header=BB1_82 Depth=1
	s_cmp_lg_u32 s66, 31
	s_cbranch_scc0 .LBB1_624
; %bb.623:                              ;   in Loop: Header=BB1_82 Depth=1
	s_add_u32 s8, s36, 0x1000
	s_addc_u32 s9, s37, 0
	s_getpc_b64 s[0:1]
	s_add_u32 s0, s0, _Z50ncclDevFunc_Reduce_RING_SIMPLE_MinMax_f8e5m2_0_0_2v@rel32@lo+4
	s_addc_u32 s1, s1, _Z50ncclDevFunc_Reduce_RING_SIMPLE_MinMax_f8e5m2_0_0_2v@rel32@hi+12
	s_mov_b64 s[4:5], s[48:49]
	s_mov_b64 s[6:7], s[38:39]
	;; [unrolled: 1-line block ×3, first 2 shown]
	s_mov_b32 s12, s55
	s_mov_b32 s13, s54
	;; [unrolled: 1-line block ×3, first 2 shown]
	v_mov_b32_e32 v31, v40
	s_swappc_b64 s[30:31], s[0:1]
	s_mov_b64 s[0:1], 0
.LBB1_624:                              ;   in Loop: Header=BB1_82 Depth=1
	s_andn2_b64 vcc, exec, s[0:1]
	s_cbranch_vccnz .LBB1_626
; %bb.625:                              ;   in Loop: Header=BB1_82 Depth=1
	s_add_u32 s8, s36, 0x1000
	s_addc_u32 s9, s37, 0
	s_getpc_b64 s[0:1]
	s_add_u32 s0, s0, _Z50ncclDevFunc_Reduce_RING_SIMPLE_MinMax_f8e4m3_0_0_2v@rel32@lo+4
	s_addc_u32 s1, s1, _Z50ncclDevFunc_Reduce_RING_SIMPLE_MinMax_f8e4m3_0_0_2v@rel32@hi+12
	s_mov_b64 s[4:5], s[48:49]
	s_mov_b64 s[6:7], s[38:39]
	;; [unrolled: 1-line block ×3, first 2 shown]
	s_mov_b32 s12, s55
	s_mov_b32 s13, s54
	s_mov_b32 s14, s33
	v_mov_b32_e32 v31, v40
	s_swappc_b64 s[30:31], s[0:1]
.LBB1_626:                              ;   in Loop: Header=BB1_82 Depth=1
	s_mov_b64 s[0:1], 0
.LBB1_627:                              ;   in Loop: Header=BB1_82 Depth=1
	s_andn2_b64 vcc, exec, s[0:1]
	s_cbranch_vccnz .LBB1_629
; %bb.628:                              ;   in Loop: Header=BB1_82 Depth=1
	s_add_u32 s8, s36, 0x1000
	s_addc_u32 s9, s37, 0
	s_getpc_b64 s[0:1]
	s_add_u32 s0, s0, _Z48ncclDevFunc_Reduce_RING_SIMPLE_MinMax_bf16_0_1_2v@rel32@lo+4
	s_addc_u32 s1, s1, _Z48ncclDevFunc_Reduce_RING_SIMPLE_MinMax_bf16_0_1_2v@rel32@hi+12
	s_mov_b64 s[4:5], s[48:49]
	s_mov_b64 s[6:7], s[38:39]
	;; [unrolled: 1-line block ×3, first 2 shown]
	s_mov_b32 s12, s55
	s_mov_b32 s13, s54
	s_mov_b32 s14, s33
	v_mov_b32_e32 v31, v40
	s_swappc_b64 s[30:31], s[0:1]
.LBB1_629:                              ;   in Loop: Header=BB1_82 Depth=1
	s_mov_b64 s[0:1], 0
.LBB1_630:                              ;   in Loop: Header=BB1_82 Depth=1
	s_and_b64 vcc, exec, s[0:1]
	s_cbranch_vccz .LBB1_639
; %bb.631:                              ;   in Loop: Header=BB1_82 Depth=1
	s_sext_i32_i16 s0, s80
	s_cmp_lt_i32 s0, 28
	s_mov_b64 s[0:1], -1
	s_cbranch_scc1 .LBB1_637
; %bb.632:                              ;   in Loop: Header=BB1_82 Depth=1
	s_cmp_lg_u32 s66, 28
	s_cbranch_scc0 .LBB1_634
; %bb.633:                              ;   in Loop: Header=BB1_82 Depth=1
	s_add_u32 s8, s36, 0x1000
	s_addc_u32 s9, s37, 0
	s_getpc_b64 s[0:1]
	s_add_u32 s0, s0, _Z48ncclDevFunc_Reduce_RING_SIMPLE_MinMax_bf16_0_0_2v@rel32@lo+4
	s_addc_u32 s1, s1, _Z48ncclDevFunc_Reduce_RING_SIMPLE_MinMax_bf16_0_0_2v@rel32@hi+12
	s_mov_b64 s[4:5], s[48:49]
	s_mov_b64 s[6:7], s[38:39]
	;; [unrolled: 1-line block ×3, first 2 shown]
	s_mov_b32 s12, s55
	s_mov_b32 s13, s54
	;; [unrolled: 1-line block ×3, first 2 shown]
	v_mov_b32_e32 v31, v40
	s_swappc_b64 s[30:31], s[0:1]
	s_mov_b64 s[0:1], 0
.LBB1_634:                              ;   in Loop: Header=BB1_82 Depth=1
	s_andn2_b64 vcc, exec, s[0:1]
	s_cbranch_vccnz .LBB1_636
; %bb.635:                              ;   in Loop: Header=BB1_82 Depth=1
	s_add_u32 s8, s36, 0x1000
	s_addc_u32 s9, s37, 0
	s_getpc_b64 s[0:1]
	s_add_u32 s0, s0, _Z47ncclDevFunc_Reduce_RING_SIMPLE_MinMax_f64_0_0_2v@rel32@lo+4
	s_addc_u32 s1, s1, _Z47ncclDevFunc_Reduce_RING_SIMPLE_MinMax_f64_0_0_2v@rel32@hi+12
	s_mov_b64 s[4:5], s[48:49]
	s_mov_b64 s[6:7], s[38:39]
	;; [unrolled: 1-line block ×3, first 2 shown]
	s_mov_b32 s12, s55
	s_mov_b32 s13, s54
	;; [unrolled: 1-line block ×3, first 2 shown]
	v_mov_b32_e32 v31, v40
	s_swappc_b64 s[30:31], s[0:1]
.LBB1_636:                              ;   in Loop: Header=BB1_82 Depth=1
	s_mov_b64 s[0:1], 0
.LBB1_637:                              ;   in Loop: Header=BB1_82 Depth=1
	s_andn2_b64 vcc, exec, s[0:1]
	s_cbranch_vccnz .LBB1_639
; %bb.638:                              ;   in Loop: Header=BB1_82 Depth=1
	s_add_u32 s8, s36, 0x1000
	s_addc_u32 s9, s37, 0
	s_getpc_b64 s[0:1]
	s_add_u32 s0, s0, _Z47ncclDevFunc_Reduce_RING_SIMPLE_MinMax_f32_0_0_2v@rel32@lo+4
	s_addc_u32 s1, s1, _Z47ncclDevFunc_Reduce_RING_SIMPLE_MinMax_f32_0_0_2v@rel32@hi+12
	s_mov_b64 s[4:5], s[48:49]
	s_mov_b64 s[6:7], s[38:39]
	;; [unrolled: 1-line block ×3, first 2 shown]
	s_mov_b32 s12, s55
	s_mov_b32 s13, s54
	s_mov_b32 s14, s33
	v_mov_b32_e32 v31, v40
	s_swappc_b64 s[30:31], s[0:1]
.LBB1_639:                              ;   in Loop: Header=BB1_82 Depth=1
	s_mov_b64 s[0:1], 0
.LBB1_640:                              ;   in Loop: Header=BB1_82 Depth=1
	s_andn2_b64 vcc, exec, s[0:1]
	s_cbranch_vccnz .LBB1_656
; %bb.641:                              ;   in Loop: Header=BB1_82 Depth=1
	s_cmp_gt_u32 s66, 23
	s_mov_b64 s[0:1], -1
	s_cbranch_scc0 .LBB1_651
; %bb.642:                              ;   in Loop: Header=BB1_82 Depth=1
	s_sext_i32_i16 s0, s80
	s_cmp_lt_i32 s0, 25
	s_mov_b64 s[0:1], -1
	s_cbranch_scc1 .LBB1_648
; %bb.643:                              ;   in Loop: Header=BB1_82 Depth=1
	s_cmp_lg_u32 s66, 25
	s_cbranch_scc0 .LBB1_645
; %bb.644:                              ;   in Loop: Header=BB1_82 Depth=1
	s_add_u32 s8, s36, 0x1000
	s_addc_u32 s9, s37, 0
	s_getpc_b64 s[0:1]
	s_add_u32 s0, s0, _Z47ncclDevFunc_Reduce_RING_SIMPLE_MinMax_f16_0_0_2v@rel32@lo+4
	s_addc_u32 s1, s1, _Z47ncclDevFunc_Reduce_RING_SIMPLE_MinMax_f16_0_0_2v@rel32@hi+12
	s_mov_b64 s[4:5], s[48:49]
	s_mov_b64 s[6:7], s[38:39]
	;; [unrolled: 1-line block ×3, first 2 shown]
	s_mov_b32 s12, s55
	s_mov_b32 s13, s54
	;; [unrolled: 1-line block ×3, first 2 shown]
	v_mov_b32_e32 v31, v40
	s_swappc_b64 s[30:31], s[0:1]
	s_mov_b64 s[0:1], 0
.LBB1_645:                              ;   in Loop: Header=BB1_82 Depth=1
	s_andn2_b64 vcc, exec, s[0:1]
	s_cbranch_vccnz .LBB1_647
; %bb.646:                              ;   in Loop: Header=BB1_82 Depth=1
	s_add_u32 s8, s36, 0x1000
	s_addc_u32 s9, s37, 0
	s_getpc_b64 s[0:1]
	s_add_u32 s0, s0, _Z47ncclDevFunc_Reduce_RING_SIMPLE_MinMax_u64_0_0_2v@rel32@lo+4
	s_addc_u32 s1, s1, _Z47ncclDevFunc_Reduce_RING_SIMPLE_MinMax_u64_0_0_2v@rel32@hi+12
	s_mov_b64 s[4:5], s[48:49]
	s_mov_b64 s[6:7], s[38:39]
	;; [unrolled: 1-line block ×3, first 2 shown]
	s_mov_b32 s12, s55
	s_mov_b32 s13, s54
	;; [unrolled: 1-line block ×3, first 2 shown]
	v_mov_b32_e32 v31, v40
	s_swappc_b64 s[30:31], s[0:1]
.LBB1_647:                              ;   in Loop: Header=BB1_82 Depth=1
	s_mov_b64 s[0:1], 0
.LBB1_648:                              ;   in Loop: Header=BB1_82 Depth=1
	s_andn2_b64 vcc, exec, s[0:1]
	s_cbranch_vccnz .LBB1_650
; %bb.649:                              ;   in Loop: Header=BB1_82 Depth=1
	s_add_u32 s8, s36, 0x1000
	s_addc_u32 s9, s37, 0
	s_getpc_b64 s[0:1]
	s_add_u32 s0, s0, _Z47ncclDevFunc_Reduce_RING_SIMPLE_MinMax_u32_0_0_2v@rel32@lo+4
	s_addc_u32 s1, s1, _Z47ncclDevFunc_Reduce_RING_SIMPLE_MinMax_u32_0_0_2v@rel32@hi+12
	s_mov_b64 s[4:5], s[48:49]
	s_mov_b64 s[6:7], s[38:39]
	;; [unrolled: 1-line block ×3, first 2 shown]
	s_mov_b32 s12, s55
	s_mov_b32 s13, s54
	;; [unrolled: 1-line block ×3, first 2 shown]
	v_mov_b32_e32 v31, v40
	s_swappc_b64 s[30:31], s[0:1]
.LBB1_650:                              ;   in Loop: Header=BB1_82 Depth=1
	s_mov_b64 s[0:1], 0
.LBB1_651:                              ;   in Loop: Header=BB1_82 Depth=1
	s_and_b64 vcc, exec, s[0:1]
	s_cbranch_vccz .LBB1_656
; %bb.652:                              ;   in Loop: Header=BB1_82 Depth=1
	s_cmp_eq_u32 s66, 23
	s_mov_b64 s[0:1], -1
	s_cbranch_scc1 .LBB1_654
; %bb.653:                              ;   in Loop: Header=BB1_82 Depth=1
	s_add_u32 s8, s36, 0x1000
	s_addc_u32 s9, s37, 0
	s_getpc_b64 s[0:1]
	s_add_u32 s0, s0, _Z48ncclDevFunc_Reduce_RING_SIMPLE_Prod_f8e5m2_0_0_2v@rel32@lo+4
	s_addc_u32 s1, s1, _Z48ncclDevFunc_Reduce_RING_SIMPLE_Prod_f8e5m2_0_0_2v@rel32@hi+12
	s_mov_b64 s[4:5], s[48:49]
	s_mov_b64 s[6:7], s[38:39]
	;; [unrolled: 1-line block ×3, first 2 shown]
	s_mov_b32 s12, s55
	s_mov_b32 s13, s54
	;; [unrolled: 1-line block ×3, first 2 shown]
	v_mov_b32_e32 v31, v40
	s_swappc_b64 s[30:31], s[0:1]
	s_mov_b64 s[0:1], 0
.LBB1_654:                              ;   in Loop: Header=BB1_82 Depth=1
	s_andn2_b64 vcc, exec, s[0:1]
	s_cbranch_vccnz .LBB1_656
; %bb.655:                              ;   in Loop: Header=BB1_82 Depth=1
	s_add_u32 s8, s36, 0x1000
	s_addc_u32 s9, s37, 0
	s_getpc_b64 s[0:1]
	s_add_u32 s0, s0, _Z46ncclDevFunc_Reduce_RING_SIMPLE_MinMax_u8_0_0_2v@rel32@lo+4
	s_addc_u32 s1, s1, _Z46ncclDevFunc_Reduce_RING_SIMPLE_MinMax_u8_0_0_2v@rel32@hi+12
	s_mov_b64 s[4:5], s[48:49]
	s_mov_b64 s[6:7], s[38:39]
	;; [unrolled: 1-line block ×3, first 2 shown]
	s_mov_b32 s12, s55
	s_mov_b32 s13, s54
	;; [unrolled: 1-line block ×3, first 2 shown]
	v_mov_b32_e32 v31, v40
	s_swappc_b64 s[30:31], s[0:1]
.LBB1_656:                              ;   in Loop: Header=BB1_82 Depth=1
	s_mov_b64 s[0:1], 0
.LBB1_657:                              ;   in Loop: Header=BB1_82 Depth=1
	s_andn2_b64 vcc, exec, s[0:1]
	s_cbranch_vccnz .LBB1_732
; %bb.658:                              ;   in Loop: Header=BB1_82 Depth=1
	s_cmp_gt_u32 s66, 10
	s_mov_b64 s[0:1], -1
	s_cbranch_scc0 .LBB1_697
; %bb.659:                              ;   in Loop: Header=BB1_82 Depth=1
	s_cmp_gt_u32 s66, 15
	s_cbranch_scc0 .LBB1_680
; %bb.660:                              ;   in Loop: Header=BB1_82 Depth=1
	s_cmp_gt_u32 s66, 18
	s_cbranch_scc0 .LBB1_670
; %bb.661:                              ;   in Loop: Header=BB1_82 Depth=1
	s_sext_i32_i16 s0, s80
	s_cmp_lt_i32 s0, 20
	s_mov_b64 s[0:1], -1
	s_cbranch_scc1 .LBB1_667
; %bb.662:                              ;   in Loop: Header=BB1_82 Depth=1
	s_cmp_lg_u32 s66, 20
	s_cbranch_scc0 .LBB1_664
; %bb.663:                              ;   in Loop: Header=BB1_82 Depth=1
	s_add_u32 s8, s36, 0x1000
	s_addc_u32 s9, s37, 0
	s_getpc_b64 s[0:1]
	s_add_u32 s0, s0, _Z48ncclDevFunc_Reduce_RING_SIMPLE_Prod_f8e4m3_0_0_2v@rel32@lo+4
	s_addc_u32 s1, s1, _Z48ncclDevFunc_Reduce_RING_SIMPLE_Prod_f8e4m3_0_0_2v@rel32@hi+12
	s_mov_b64 s[4:5], s[48:49]
	s_mov_b64 s[6:7], s[38:39]
	;; [unrolled: 1-line block ×3, first 2 shown]
	s_mov_b32 s12, s55
	s_mov_b32 s13, s54
	;; [unrolled: 1-line block ×3, first 2 shown]
	v_mov_b32_e32 v31, v40
	s_swappc_b64 s[30:31], s[0:1]
	s_mov_b64 s[0:1], 0
.LBB1_664:                              ;   in Loop: Header=BB1_82 Depth=1
	s_andn2_b64 vcc, exec, s[0:1]
	s_cbranch_vccnz .LBB1_666
; %bb.665:                              ;   in Loop: Header=BB1_82 Depth=1
	s_add_u32 s8, s36, 0x1000
	s_addc_u32 s9, s37, 0
	s_getpc_b64 s[0:1]
	s_add_u32 s0, s0, _Z46ncclDevFunc_Reduce_RING_SIMPLE_Prod_bf16_0_1_2v@rel32@lo+4
	s_addc_u32 s1, s1, _Z46ncclDevFunc_Reduce_RING_SIMPLE_Prod_bf16_0_1_2v@rel32@hi+12
	s_mov_b64 s[4:5], s[48:49]
	s_mov_b64 s[6:7], s[38:39]
	;; [unrolled: 1-line block ×3, first 2 shown]
	s_mov_b32 s12, s55
	s_mov_b32 s13, s54
	;; [unrolled: 1-line block ×3, first 2 shown]
	v_mov_b32_e32 v31, v40
	s_swappc_b64 s[30:31], s[0:1]
.LBB1_666:                              ;   in Loop: Header=BB1_82 Depth=1
	s_mov_b64 s[0:1], 0
.LBB1_667:                              ;   in Loop: Header=BB1_82 Depth=1
	s_andn2_b64 vcc, exec, s[0:1]
	s_cbranch_vccnz .LBB1_669
; %bb.668:                              ;   in Loop: Header=BB1_82 Depth=1
	s_add_u32 s8, s36, 0x1000
	s_addc_u32 s9, s37, 0
	s_getpc_b64 s[0:1]
	s_add_u32 s0, s0, _Z46ncclDevFunc_Reduce_RING_SIMPLE_Prod_bf16_0_0_2v@rel32@lo+4
	s_addc_u32 s1, s1, _Z46ncclDevFunc_Reduce_RING_SIMPLE_Prod_bf16_0_0_2v@rel32@hi+12
	s_mov_b64 s[4:5], s[48:49]
	s_mov_b64 s[6:7], s[38:39]
	;; [unrolled: 1-line block ×3, first 2 shown]
	s_mov_b32 s12, s55
	s_mov_b32 s13, s54
	;; [unrolled: 1-line block ×3, first 2 shown]
	v_mov_b32_e32 v31, v40
	s_swappc_b64 s[30:31], s[0:1]
.LBB1_669:                              ;   in Loop: Header=BB1_82 Depth=1
	s_mov_b64 s[0:1], 0
.LBB1_670:                              ;   in Loop: Header=BB1_82 Depth=1
	s_and_b64 vcc, exec, s[0:1]
	s_cbranch_vccz .LBB1_679
; %bb.671:                              ;   in Loop: Header=BB1_82 Depth=1
	s_sext_i32_i16 s0, s80
	s_cmp_lt_i32 s0, 17
	s_mov_b64 s[0:1], -1
	s_cbranch_scc1 .LBB1_677
; %bb.672:                              ;   in Loop: Header=BB1_82 Depth=1
	s_cmp_lg_u32 s66, 17
	s_cbranch_scc0 .LBB1_674
; %bb.673:                              ;   in Loop: Header=BB1_82 Depth=1
	s_add_u32 s8, s36, 0x1000
	s_addc_u32 s9, s37, 0
	s_getpc_b64 s[0:1]
	s_add_u32 s0, s0, _Z45ncclDevFunc_Reduce_RING_SIMPLE_Prod_f64_0_0_2v@rel32@lo+4
	s_addc_u32 s1, s1, _Z45ncclDevFunc_Reduce_RING_SIMPLE_Prod_f64_0_0_2v@rel32@hi+12
	s_mov_b64 s[4:5], s[48:49]
	s_mov_b64 s[6:7], s[38:39]
	s_mov_b64 s[10:11], s[34:35]
	s_mov_b32 s12, s55
	s_mov_b32 s13, s54
	;; [unrolled: 1-line block ×3, first 2 shown]
	v_mov_b32_e32 v31, v40
	s_swappc_b64 s[30:31], s[0:1]
	s_mov_b64 s[0:1], 0
.LBB1_674:                              ;   in Loop: Header=BB1_82 Depth=1
	s_andn2_b64 vcc, exec, s[0:1]
	s_cbranch_vccnz .LBB1_676
; %bb.675:                              ;   in Loop: Header=BB1_82 Depth=1
	s_add_u32 s8, s36, 0x1000
	s_addc_u32 s9, s37, 0
	s_getpc_b64 s[0:1]
	s_add_u32 s0, s0, _Z45ncclDevFunc_Reduce_RING_SIMPLE_Prod_f32_0_0_2v@rel32@lo+4
	s_addc_u32 s1, s1, _Z45ncclDevFunc_Reduce_RING_SIMPLE_Prod_f32_0_0_2v@rel32@hi+12
	s_mov_b64 s[4:5], s[48:49]
	s_mov_b64 s[6:7], s[38:39]
	;; [unrolled: 1-line block ×3, first 2 shown]
	s_mov_b32 s12, s55
	s_mov_b32 s13, s54
	;; [unrolled: 1-line block ×3, first 2 shown]
	v_mov_b32_e32 v31, v40
	s_swappc_b64 s[30:31], s[0:1]
.LBB1_676:                              ;   in Loop: Header=BB1_82 Depth=1
	s_mov_b64 s[0:1], 0
.LBB1_677:                              ;   in Loop: Header=BB1_82 Depth=1
	s_andn2_b64 vcc, exec, s[0:1]
	s_cbranch_vccnz .LBB1_679
; %bb.678:                              ;   in Loop: Header=BB1_82 Depth=1
	s_add_u32 s8, s36, 0x1000
	s_addc_u32 s9, s37, 0
	s_getpc_b64 s[0:1]
	s_add_u32 s0, s0, _Z45ncclDevFunc_Reduce_RING_SIMPLE_Prod_f16_0_0_2v@rel32@lo+4
	s_addc_u32 s1, s1, _Z45ncclDevFunc_Reduce_RING_SIMPLE_Prod_f16_0_0_2v@rel32@hi+12
	s_mov_b64 s[4:5], s[48:49]
	s_mov_b64 s[6:7], s[38:39]
	;; [unrolled: 1-line block ×3, first 2 shown]
	s_mov_b32 s12, s55
	s_mov_b32 s13, s54
	;; [unrolled: 1-line block ×3, first 2 shown]
	v_mov_b32_e32 v31, v40
	s_swappc_b64 s[30:31], s[0:1]
.LBB1_679:                              ;   in Loop: Header=BB1_82 Depth=1
	s_mov_b64 s[0:1], 0
.LBB1_680:                              ;   in Loop: Header=BB1_82 Depth=1
	s_andn2_b64 vcc, exec, s[0:1]
	s_cbranch_vccnz .LBB1_696
; %bb.681:                              ;   in Loop: Header=BB1_82 Depth=1
	s_cmp_gt_u32 s66, 12
	s_mov_b64 s[0:1], -1
	s_cbranch_scc0 .LBB1_691
; %bb.682:                              ;   in Loop: Header=BB1_82 Depth=1
	s_sext_i32_i16 s0, s80
	s_cmp_lt_i32 s0, 14
	s_mov_b64 s[0:1], -1
	s_cbranch_scc1 .LBB1_688
; %bb.683:                              ;   in Loop: Header=BB1_82 Depth=1
	s_cmp_lg_u32 s66, 14
	s_cbranch_scc0 .LBB1_685
; %bb.684:                              ;   in Loop: Header=BB1_82 Depth=1
	s_add_u32 s8, s36, 0x1000
	s_addc_u32 s9, s37, 0
	s_getpc_b64 s[0:1]
	s_add_u32 s0, s0, _Z45ncclDevFunc_Reduce_RING_SIMPLE_Prod_u64_0_0_2v@rel32@lo+4
	s_addc_u32 s1, s1, _Z45ncclDevFunc_Reduce_RING_SIMPLE_Prod_u64_0_0_2v@rel32@hi+12
	s_mov_b64 s[4:5], s[48:49]
	s_mov_b64 s[6:7], s[38:39]
	;; [unrolled: 1-line block ×3, first 2 shown]
	s_mov_b32 s12, s55
	s_mov_b32 s13, s54
	;; [unrolled: 1-line block ×3, first 2 shown]
	v_mov_b32_e32 v31, v40
	s_swappc_b64 s[30:31], s[0:1]
	s_mov_b64 s[0:1], 0
.LBB1_685:                              ;   in Loop: Header=BB1_82 Depth=1
	s_andn2_b64 vcc, exec, s[0:1]
	s_cbranch_vccnz .LBB1_687
; %bb.686:                              ;   in Loop: Header=BB1_82 Depth=1
	s_add_u32 s8, s36, 0x1000
	s_addc_u32 s9, s37, 0
	s_getpc_b64 s[0:1]
	s_add_u32 s0, s0, _Z45ncclDevFunc_Reduce_RING_SIMPLE_Prod_u32_0_0_2v@rel32@lo+4
	s_addc_u32 s1, s1, _Z45ncclDevFunc_Reduce_RING_SIMPLE_Prod_u32_0_0_2v@rel32@hi+12
	s_mov_b64 s[4:5], s[48:49]
	s_mov_b64 s[6:7], s[38:39]
	;; [unrolled: 1-line block ×3, first 2 shown]
	s_mov_b32 s12, s55
	s_mov_b32 s13, s54
	;; [unrolled: 1-line block ×3, first 2 shown]
	v_mov_b32_e32 v31, v40
	s_swappc_b64 s[30:31], s[0:1]
.LBB1_687:                              ;   in Loop: Header=BB1_82 Depth=1
	s_mov_b64 s[0:1], 0
.LBB1_688:                              ;   in Loop: Header=BB1_82 Depth=1
	s_andn2_b64 vcc, exec, s[0:1]
	s_cbranch_vccnz .LBB1_690
; %bb.689:                              ;   in Loop: Header=BB1_82 Depth=1
	s_add_u32 s8, s36, 0x1000
	s_addc_u32 s9, s37, 0
	s_getpc_b64 s[0:1]
	s_add_u32 s0, s0, _Z44ncclDevFunc_Reduce_RING_SIMPLE_Prod_u8_0_0_2v@rel32@lo+4
	s_addc_u32 s1, s1, _Z44ncclDevFunc_Reduce_RING_SIMPLE_Prod_u8_0_0_2v@rel32@hi+12
	s_mov_b64 s[4:5], s[48:49]
	s_mov_b64 s[6:7], s[38:39]
	;; [unrolled: 1-line block ×3, first 2 shown]
	s_mov_b32 s12, s55
	s_mov_b32 s13, s54
	;; [unrolled: 1-line block ×3, first 2 shown]
	v_mov_b32_e32 v31, v40
	s_swappc_b64 s[30:31], s[0:1]
.LBB1_690:                              ;   in Loop: Header=BB1_82 Depth=1
	s_mov_b64 s[0:1], 0
.LBB1_691:                              ;   in Loop: Header=BB1_82 Depth=1
	s_and_b64 vcc, exec, s[0:1]
	s_cbranch_vccz .LBB1_696
; %bb.692:                              ;   in Loop: Header=BB1_82 Depth=1
	s_cmp_eq_u32 s66, 12
	s_mov_b64 s[0:1], -1
	s_cbranch_scc1 .LBB1_694
; %bb.693:                              ;   in Loop: Header=BB1_82 Depth=1
	s_add_u32 s8, s36, 0x1000
	s_addc_u32 s9, s37, 0
	s_getpc_b64 s[0:1]
	s_add_u32 s0, s0, _Z47ncclDevFunc_Reduce_RING_SIMPLE_Sum_f8e4m3_0_0_2v@rel32@lo+4
	s_addc_u32 s1, s1, _Z47ncclDevFunc_Reduce_RING_SIMPLE_Sum_f8e4m3_0_0_2v@rel32@hi+12
	s_mov_b64 s[4:5], s[48:49]
	s_mov_b64 s[6:7], s[38:39]
	;; [unrolled: 1-line block ×3, first 2 shown]
	s_mov_b32 s12, s55
	s_mov_b32 s13, s54
	;; [unrolled: 1-line block ×3, first 2 shown]
	v_mov_b32_e32 v31, v40
	s_swappc_b64 s[30:31], s[0:1]
	s_mov_b64 s[0:1], 0
.LBB1_694:                              ;   in Loop: Header=BB1_82 Depth=1
	s_andn2_b64 vcc, exec, s[0:1]
	s_cbranch_vccnz .LBB1_696
; %bb.695:                              ;   in Loop: Header=BB1_82 Depth=1
	s_add_u32 s8, s36, 0x1000
	s_addc_u32 s9, s37, 0
	s_getpc_b64 s[0:1]
	s_add_u32 s0, s0, _Z47ncclDevFunc_Reduce_RING_SIMPLE_Sum_f8e5m2_0_0_2v@rel32@lo+4
	s_addc_u32 s1, s1, _Z47ncclDevFunc_Reduce_RING_SIMPLE_Sum_f8e5m2_0_0_2v@rel32@hi+12
	s_mov_b64 s[4:5], s[48:49]
	s_mov_b64 s[6:7], s[38:39]
	;; [unrolled: 1-line block ×3, first 2 shown]
	s_mov_b32 s12, s55
	s_mov_b32 s13, s54
	;; [unrolled: 1-line block ×3, first 2 shown]
	v_mov_b32_e32 v31, v40
	s_swappc_b64 s[30:31], s[0:1]
.LBB1_696:                              ;   in Loop: Header=BB1_82 Depth=1
	s_mov_b64 s[0:1], 0
.LBB1_697:                              ;   in Loop: Header=BB1_82 Depth=1
	s_andn2_b64 vcc, exec, s[0:1]
	s_cbranch_vccnz .LBB1_732
; %bb.698:                              ;   in Loop: Header=BB1_82 Depth=1
	s_cmp_gt_u32 s66, 4
	s_mov_b64 s[0:1], -1
	s_cbranch_scc0 .LBB1_719
; %bb.699:                              ;   in Loop: Header=BB1_82 Depth=1
	s_cmp_gt_u32 s66, 7
	s_cbranch_scc0 .LBB1_709
; %bb.700:                              ;   in Loop: Header=BB1_82 Depth=1
	s_sext_i32_i16 s0, s80
	s_cmp_lt_i32 s0, 9
	s_mov_b64 s[0:1], -1
	s_cbranch_scc1 .LBB1_706
; %bb.701:                              ;   in Loop: Header=BB1_82 Depth=1
	s_cmp_lg_u32 s66, 9
	s_cbranch_scc0 .LBB1_703
; %bb.702:                              ;   in Loop: Header=BB1_82 Depth=1
	s_add_u32 s8, s36, 0x1000
	s_addc_u32 s9, s37, 0
	s_getpc_b64 s[0:1]
	s_add_u32 s0, s0, _Z45ncclDevFunc_Reduce_RING_SIMPLE_Sum_bf16_0_1_2v@rel32@lo+4
	s_addc_u32 s1, s1, _Z45ncclDevFunc_Reduce_RING_SIMPLE_Sum_bf16_0_1_2v@rel32@hi+12
	s_mov_b64 s[4:5], s[48:49]
	s_mov_b64 s[6:7], s[38:39]
	;; [unrolled: 1-line block ×3, first 2 shown]
	s_mov_b32 s12, s55
	s_mov_b32 s13, s54
	;; [unrolled: 1-line block ×3, first 2 shown]
	v_mov_b32_e32 v31, v40
	s_swappc_b64 s[30:31], s[0:1]
	s_mov_b64 s[0:1], 0
.LBB1_703:                              ;   in Loop: Header=BB1_82 Depth=1
	s_andn2_b64 vcc, exec, s[0:1]
	s_cbranch_vccnz .LBB1_705
; %bb.704:                              ;   in Loop: Header=BB1_82 Depth=1
	s_add_u32 s8, s36, 0x1000
	s_addc_u32 s9, s37, 0
	s_getpc_b64 s[0:1]
	s_add_u32 s0, s0, _Z45ncclDevFunc_Reduce_RING_SIMPLE_Sum_bf16_0_0_2v@rel32@lo+4
	s_addc_u32 s1, s1, _Z45ncclDevFunc_Reduce_RING_SIMPLE_Sum_bf16_0_0_2v@rel32@hi+12
	s_mov_b64 s[4:5], s[48:49]
	s_mov_b64 s[6:7], s[38:39]
	;; [unrolled: 1-line block ×3, first 2 shown]
	s_mov_b32 s12, s55
	s_mov_b32 s13, s54
	;; [unrolled: 1-line block ×3, first 2 shown]
	v_mov_b32_e32 v31, v40
	s_swappc_b64 s[30:31], s[0:1]
.LBB1_705:                              ;   in Loop: Header=BB1_82 Depth=1
	s_mov_b64 s[0:1], 0
.LBB1_706:                              ;   in Loop: Header=BB1_82 Depth=1
	s_andn2_b64 vcc, exec, s[0:1]
	s_cbranch_vccnz .LBB1_708
; %bb.707:                              ;   in Loop: Header=BB1_82 Depth=1
	s_add_u32 s8, s36, 0x1000
	s_addc_u32 s9, s37, 0
	s_getpc_b64 s[0:1]
	s_add_u32 s0, s0, _Z44ncclDevFunc_Reduce_RING_SIMPLE_Sum_f64_0_0_2v@rel32@lo+4
	s_addc_u32 s1, s1, _Z44ncclDevFunc_Reduce_RING_SIMPLE_Sum_f64_0_0_2v@rel32@hi+12
	s_mov_b64 s[4:5], s[48:49]
	s_mov_b64 s[6:7], s[38:39]
	;; [unrolled: 1-line block ×3, first 2 shown]
	s_mov_b32 s12, s55
	s_mov_b32 s13, s54
	;; [unrolled: 1-line block ×3, first 2 shown]
	v_mov_b32_e32 v31, v40
	s_swappc_b64 s[30:31], s[0:1]
.LBB1_708:                              ;   in Loop: Header=BB1_82 Depth=1
	s_mov_b64 s[0:1], 0
.LBB1_709:                              ;   in Loop: Header=BB1_82 Depth=1
	s_and_b64 vcc, exec, s[0:1]
	s_cbranch_vccz .LBB1_718
; %bb.710:                              ;   in Loop: Header=BB1_82 Depth=1
	s_sext_i32_i16 s0, s80
	s_cmp_lt_i32 s0, 6
	s_mov_b64 s[0:1], -1
	s_cbranch_scc1 .LBB1_716
; %bb.711:                              ;   in Loop: Header=BB1_82 Depth=1
	s_cmp_lg_u32 s66, 6
	s_cbranch_scc0 .LBB1_713
; %bb.712:                              ;   in Loop: Header=BB1_82 Depth=1
	s_add_u32 s8, s36, 0x1000
	s_addc_u32 s9, s37, 0
	s_getpc_b64 s[0:1]
	s_add_u32 s0, s0, _Z44ncclDevFunc_Reduce_RING_SIMPLE_Sum_f32_0_0_2v@rel32@lo+4
	s_addc_u32 s1, s1, _Z44ncclDevFunc_Reduce_RING_SIMPLE_Sum_f32_0_0_2v@rel32@hi+12
	s_mov_b64 s[4:5], s[48:49]
	s_mov_b64 s[6:7], s[38:39]
	;; [unrolled: 1-line block ×3, first 2 shown]
	s_mov_b32 s12, s55
	s_mov_b32 s13, s54
	;; [unrolled: 1-line block ×3, first 2 shown]
	v_mov_b32_e32 v31, v40
	s_swappc_b64 s[30:31], s[0:1]
	s_mov_b64 s[0:1], 0
.LBB1_713:                              ;   in Loop: Header=BB1_82 Depth=1
	s_andn2_b64 vcc, exec, s[0:1]
	s_cbranch_vccnz .LBB1_715
; %bb.714:                              ;   in Loop: Header=BB1_82 Depth=1
	s_add_u32 s8, s36, 0x1000
	s_addc_u32 s9, s37, 0
	s_getpc_b64 s[0:1]
	s_add_u32 s0, s0, _Z44ncclDevFunc_Reduce_RING_SIMPLE_Sum_f16_0_0_2v@rel32@lo+4
	s_addc_u32 s1, s1, _Z44ncclDevFunc_Reduce_RING_SIMPLE_Sum_f16_0_0_2v@rel32@hi+12
	s_mov_b64 s[4:5], s[48:49]
	s_mov_b64 s[6:7], s[38:39]
	;; [unrolled: 1-line block ×3, first 2 shown]
	s_mov_b32 s12, s55
	s_mov_b32 s13, s54
	;; [unrolled: 1-line block ×3, first 2 shown]
	v_mov_b32_e32 v31, v40
	s_swappc_b64 s[30:31], s[0:1]
.LBB1_715:                              ;   in Loop: Header=BB1_82 Depth=1
	s_mov_b64 s[0:1], 0
.LBB1_716:                              ;   in Loop: Header=BB1_82 Depth=1
	s_andn2_b64 vcc, exec, s[0:1]
	s_cbranch_vccnz .LBB1_718
; %bb.717:                              ;   in Loop: Header=BB1_82 Depth=1
	s_add_u32 s8, s36, 0x1000
	s_addc_u32 s9, s37, 0
	s_getpc_b64 s[0:1]
	s_add_u32 s0, s0, _Z44ncclDevFunc_Reduce_RING_SIMPLE_Sum_u64_0_0_2v@rel32@lo+4
	s_addc_u32 s1, s1, _Z44ncclDevFunc_Reduce_RING_SIMPLE_Sum_u64_0_0_2v@rel32@hi+12
	s_mov_b64 s[4:5], s[48:49]
	s_mov_b64 s[6:7], s[38:39]
	;; [unrolled: 1-line block ×3, first 2 shown]
	s_mov_b32 s12, s55
	s_mov_b32 s13, s54
	;; [unrolled: 1-line block ×3, first 2 shown]
	v_mov_b32_e32 v31, v40
	s_swappc_b64 s[30:31], s[0:1]
.LBB1_718:                              ;   in Loop: Header=BB1_82 Depth=1
	s_mov_b64 s[0:1], 0
.LBB1_719:                              ;   in Loop: Header=BB1_82 Depth=1
	s_andn2_b64 vcc, exec, s[0:1]
	s_cbranch_vccnz .LBB1_732
; %bb.720:                              ;   in Loop: Header=BB1_82 Depth=1
	s_cmp_gt_u32 s66, 1
	s_mov_b64 s[0:1], -1
	s_cbranch_scc0 .LBB1_730
; %bb.721:                              ;   in Loop: Header=BB1_82 Depth=1
	s_sext_i32_i16 s0, s80
	s_cmp_lt_i32 s0, 3
	s_mov_b64 s[0:1], -1
	s_cbranch_scc1 .LBB1_727
; %bb.722:                              ;   in Loop: Header=BB1_82 Depth=1
	s_cmp_lg_u32 s66, 3
	s_cbranch_scc0 .LBB1_724
; %bb.723:                              ;   in Loop: Header=BB1_82 Depth=1
	s_add_u32 s8, s36, 0x1000
	s_addc_u32 s9, s37, 0
	s_getpc_b64 s[0:1]
	s_add_u32 s0, s0, _Z44ncclDevFunc_Reduce_RING_SIMPLE_Sum_u32_0_0_2v@rel32@lo+4
	s_addc_u32 s1, s1, _Z44ncclDevFunc_Reduce_RING_SIMPLE_Sum_u32_0_0_2v@rel32@hi+12
	s_mov_b64 s[4:5], s[48:49]
	s_mov_b64 s[6:7], s[38:39]
	;; [unrolled: 1-line block ×3, first 2 shown]
	s_mov_b32 s12, s55
	s_mov_b32 s13, s54
	;; [unrolled: 1-line block ×3, first 2 shown]
	v_mov_b32_e32 v31, v40
	s_swappc_b64 s[30:31], s[0:1]
	s_mov_b64 s[0:1], 0
.LBB1_724:                              ;   in Loop: Header=BB1_82 Depth=1
	s_andn2_b64 vcc, exec, s[0:1]
	s_cbranch_vccnz .LBB1_726
; %bb.725:                              ;   in Loop: Header=BB1_82 Depth=1
	s_add_u32 s8, s36, 0x1000
	s_addc_u32 s9, s37, 0
	s_getpc_b64 s[0:1]
	s_add_u32 s0, s0, _Z43ncclDevFunc_Reduce_RING_SIMPLE_Sum_u8_0_0_2v@rel32@lo+4
	s_addc_u32 s1, s1, _Z43ncclDevFunc_Reduce_RING_SIMPLE_Sum_u8_0_0_2v@rel32@hi+12
	s_mov_b64 s[4:5], s[48:49]
	s_mov_b64 s[6:7], s[38:39]
	;; [unrolled: 1-line block ×3, first 2 shown]
	s_mov_b32 s12, s55
	s_mov_b32 s13, s54
	;; [unrolled: 1-line block ×3, first 2 shown]
	v_mov_b32_e32 v31, v40
	s_swappc_b64 s[30:31], s[0:1]
.LBB1_726:                              ;   in Loop: Header=BB1_82 Depth=1
	s_mov_b64 s[0:1], 0
.LBB1_727:                              ;   in Loop: Header=BB1_82 Depth=1
	s_andn2_b64 vcc, exec, s[0:1]
	s_cbranch_vccnz .LBB1_729
; %bb.728:                              ;   in Loop: Header=BB1_82 Depth=1
	s_add_u32 s8, s36, 0x1000
	s_addc_u32 s9, s37, 0
	s_getpc_b64 s[0:1]
	s_add_u32 s0, s0, _Z46ncclDevFunc_Broadcast_RING_SIMPLE_Sum_i8_0_0_2v@rel32@lo+4
	s_addc_u32 s1, s1, _Z46ncclDevFunc_Broadcast_RING_SIMPLE_Sum_i8_0_0_2v@rel32@hi+12
	s_mov_b64 s[4:5], s[48:49]
	s_mov_b64 s[6:7], s[38:39]
	;; [unrolled: 1-line block ×3, first 2 shown]
	s_mov_b32 s12, s55
	s_mov_b32 s13, s54
	;; [unrolled: 1-line block ×3, first 2 shown]
	v_mov_b32_e32 v31, v40
	s_swappc_b64 s[30:31], s[0:1]
.LBB1_729:                              ;   in Loop: Header=BB1_82 Depth=1
	s_mov_b64 s[0:1], 0
.LBB1_730:                              ;   in Loop: Header=BB1_82 Depth=1
	s_and_b64 vcc, exec, s[0:1]
	s_cbranch_vccz .LBB1_732
; %bb.731:                              ;   in Loop: Header=BB1_82 Depth=1
	s_add_u32 s8, s36, 0x1000
	s_addc_u32 s9, s37, 0
	s_getpc_b64 s[0:1]
	s_add_u32 s0, s0, _Z42ncclDevFunc_Broadcast_RING_LL_Sum_i8_0_0_2v@rel32@lo+4
	s_addc_u32 s1, s1, _Z42ncclDevFunc_Broadcast_RING_LL_Sum_i8_0_0_2v@rel32@hi+12
	s_mov_b64 s[4:5], s[48:49]
	s_mov_b64 s[6:7], s[38:39]
	;; [unrolled: 1-line block ×3, first 2 shown]
	s_mov_b32 s12, s55
	s_mov_b32 s13, s54
	;; [unrolled: 1-line block ×3, first 2 shown]
	v_mov_b32_e32 v31, v40
	s_swappc_b64 s[30:31], s[0:1]
.LBB1_732:                              ;   in Loop: Header=BB1_82 Depth=1
	ds_read_b32 v0, v43 offset:33444
	s_waitcnt lgkmcnt(0)
	v_cmp_eq_u32_e32 vcc, -1, v0
	v_readfirstlane_b32 s8, v0
	s_cbranch_vccnz .LBB1_747
; %bb.733:                              ;   in Loop: Header=BB1_82 Depth=1
	s_barrier
	s_and_saveexec_b64 s[0:1], s[64:65]
	s_cbranch_execz .LBB1_737
; %bb.734:                              ;   in Loop: Header=BB1_82 Depth=1
	s_and_saveexec_b64 s[2:3], s[52:53]
; %bb.735:                              ;   in Loop: Header=BB1_82 Depth=1
	ds_write_b64 v43, v[58:59] offset:37592
; %bb.736:                              ;   in Loop: Header=BB1_82 Depth=1
	s_or_b64 exec, exec, s[2:3]
	ds_write_b64 v41, v[58:59]
.LBB1_737:                              ;   in Loop: Header=BB1_82 Depth=1
	s_or_b64 exec, exec, s[0:1]
	s_and_saveexec_b64 s[0:1], s[50:51]
	s_cbranch_execz .LBB1_749
; %bb.738:                              ;   in Loop: Header=BB1_82 Depth=1
	ds_read_b64 v[2:3], v43 offset:33424
	ds_read_b32 v4, v43 offset:33452
	s_waitcnt lgkmcnt(0)
	v_lshl_add_u64 v[0:1], v[2:3], 0, 1
	v_ashrrev_i32_e32 v5, 31, v4
	v_lshl_add_u64 v[6:7], v[2:3], 0, v[4:5]
	v_cmp_gt_u64_e32 vcc, v[0:1], v[6:7]
	s_cbranch_vccnz .LBB1_748
; %bb.739:                              ;   in Loop: Header=BB1_82 Depth=1
	ds_read_u8 v8, v43 offset:33448
	s_mov_b32 s4, 0x8f0e
	s_mov_b32 s5, 0x8eda
	s_branch .LBB1_741
.LBB1_740:                              ;   in Loop: Header=BB1_741 Depth=2
	s_waitcnt lgkmcnt(0)
	v_ashrrev_i32_e32 v5, 31, v4
	v_lshl_add_u64 v[0:1], v[0:1], 0, 1
	v_lshl_add_u64 v[6:7], v[2:3], 0, v[4:5]
	v_cmp_le_u64_e32 vcc, v[0:1], v[6:7]
	s_add_i32 s4, s4, 64
	s_addk_i32 s5, 0x80
	s_cbranch_vccz .LBB1_748
.LBB1_741:                              ;   Parent Loop BB1_82 Depth=1
                                        ; =>  This Inner Loop Header: Depth=2
	s_waitcnt lgkmcnt(0)
	v_cmp_ne_u32_sdwa s[2:3], v8, v43 src0_sel:BYTE_0 src1_sel:DWORD
	s_and_b64 vcc, exec, s[2:3]
	s_cbranch_vccz .LBB1_746
; %bb.742:                              ;   in Loop: Header=BB1_741 Depth=2
	v_mov_b32_e32 v5, s5
	ds_read_u8 v5, v5
	s_waitcnt lgkmcnt(0)
	v_and_b32_e32 v5, 1, v5
	s_cbranch_execnz .LBB1_744
.LBB1_743:                              ;   in Loop: Header=BB1_741 Depth=2
	v_mov_b32_e32 v5, s4
	ds_read_u16 v5, v5
	s_waitcnt lgkmcnt(0)
	v_bfe_u32 v5, v5, 6, 1
.LBB1_744:                              ;   in Loop: Header=BB1_741 Depth=2
	v_cmp_eq_u32_e32 vcc, 0, v5
	s_cbranch_vccnz .LBB1_740
; %bb.745:                              ;   in Loop: Header=BB1_741 Depth=2
	s_memrealtime s[2:3]
	ds_read_u8 v8, v43 offset:33448
	ds_read_b32 v2, v43 offset:32944
	ds_read_b64 v[4:5], v43 offset:33048
	v_and_b32_e32 v6, 63, v0
	v_lshlrev_b32_e32 v42, 4, v6
	s_waitcnt lgkmcnt(0)
	v_ashrrev_i32_e32 v3, 31, v2
	v_lshlrev_b64 v[2:3], 10, v[2:3]
	v_lshl_add_u64 v[2:3], v[4:5], 0, v[2:3]
	v_lshl_add_u64 v[4:5], v[2:3], 0, v[42:43]
	v_mov_b32_e32 v2, s2
	v_mov_b32_e32 v3, s3
	flat_store_dwordx4 v[4:5], v[0:3]
	ds_read_b64 v[2:3], v43 offset:33424
	ds_read_b32 v4, v43 offset:33452
	s_branch .LBB1_740
.LBB1_746:                              ;   in Loop: Header=BB1_741 Depth=2
                                        ; implicit-def: $vgpr5
	s_branch .LBB1_743
.LBB1_747:                              ;   in Loop: Header=BB1_82 Depth=1
	s_cbranch_execz .LBB1_82
	s_branch .LBB1_68
.LBB1_748:                              ;   in Loop: Header=BB1_82 Depth=1
	ds_write_b64 v43, v[6:7] offset:33424
.LBB1_749:                              ;   in Loop: Header=BB1_82 Depth=1
	s_or_b64 exec, exec, s[0:1]
	s_mov_b32 s12, 0
	v_mov_b32_e32 v1, v56
                                        ; implicit-def: $vgpr8_vgpr9_vgpr10_vgpr11
	s_branch .LBB1_752
.LBB1_750:                              ;   in Loop: Header=BB1_752 Depth=2
	s_or_b64 exec, exec, s[6:7]
	s_mov_b32 s5, s8
	v_mov_b32_e32 v0, v1
.LBB1_751:                              ;   in Loop: Header=BB1_752 Depth=2
	s_andn2_b64 vcc, exec, s[2:3]
	s_mov_b32 s8, s5
	v_mov_b32_e32 v1, v0
	s_cbranch_vccz .LBB1_81
.LBB1_752:                              ;   Parent Loop BB1_82 Depth=1
                                        ; =>  This Inner Loop Header: Depth=2
	s_ashr_i32 s9, s8, 31
	s_lshl_b64 s[0:1], s[8:9], 4
	s_add_u32 s0, s36, s0
	s_addc_u32 s1, s37, s1
	s_load_dwordx4 s[4:7], s[0:1], 0x30
	s_waitcnt lgkmcnt(0)
	v_and_b32_e32 v3, s7, v45
	v_and_b32_e32 v2, s6, v44
	v_cmp_ne_u64_e32 vcc, 0, v[2:3]
	s_and_saveexec_b64 s[0:1], vcc
	s_cbranch_execz .LBB1_754
; %bb.753:                              ;   in Loop: Header=BB1_752 Depth=2
	v_and_b32_e32 v2, s6, v46
	v_and_b32_e32 v0, s7, v47
	v_bcnt_u32_b32 v2, v2, 0
	v_bcnt_u32_b32 v0, v0, v2
	v_add_u32_e32 v0, v57, v0
	ds_write_b8 v0, v56
.LBB1_754:                              ;   in Loop: Header=BB1_752 Depth=2
	s_or_b64 exec, exec, s[0:1]
	s_bcnt1_i32_b64 s13, s[6:7]
	s_bfe_u32 s9, s4, 0x2000f
	s_cmp_lt_i32 s9, 1
	s_mov_b64 s[0:1], -1
                                        ; implicit-def: $vgpr2
                                        ; implicit-def: $vgpr3
                                        ; implicit-def: $vgpr0
                                        ; implicit-def: $vgpr4
	s_cbranch_scc1 .LBB1_762
; %bb.755:                              ;   in Loop: Header=BB1_752 Depth=2
	s_cmp_lg_u32 s9, 1
                                        ; implicit-def: $vgpr2
                                        ; implicit-def: $vgpr3
                                        ; implicit-def: $vgpr0
	s_cbranch_scc0 .LBB1_757
; %bb.756:                              ;   in Loop: Header=BB1_752 Depth=2
	v_mul_hi_i32 v2, v1, s70
	v_lshrrev_b32_e32 v3, 31, v2
	v_ashrrev_i32_e32 v2, 3, v2
	v_add_u32_e32 v2, v2, v3
	v_mul_lo_u32 v3, v2, 20
	v_mul_u32_u24_e64 v0, s13, 20
	v_sub_u32_e32 v3, v1, v3
	s_mov_b64 s[0:1], 0
.LBB1_757:                              ;   in Loop: Header=BB1_752 Depth=2
	s_andn2_b64 vcc, exec, s[0:1]
	s_movk_i32 s2, 0x140
	s_cbranch_vccnz .LBB1_759
; %bb.758:                              ;   in Loop: Header=BB1_752 Depth=2
	v_ashrrev_i32_e32 v0, 31, v1
	v_lshrrev_b32_e32 v0, 29, v0
	v_add_u32_e32 v0, v1, v0
	s_lshl_b32 s0, s13, 3
	v_ashrrev_i32_e32 v2, 3, v0
	v_and_b32_e32 v0, -8, v0
	v_sub_u32_e32 v3, v1, v0
	s_movk_i32 s2, 0x80
	v_mov_b32_e32 v0, s0
.LBB1_759:                              ;   in Loop: Header=BB1_752 Depth=2
	v_mov_b32_e32 v4, s2
	s_cbranch_execz .LBB1_763
.LBB1_760:                              ;   in Loop: Header=BB1_752 Depth=2
	v_cmp_eq_u32_e64 s[0:1], 0, v1
	s_and_saveexec_b64 s[2:3], s[0:1]
	s_cbranch_execz .LBB1_764
.LBB1_761:                              ;   in Loop: Header=BB1_752 Depth=2
	ds_write_b32 v43, v4 offset:33456
	s_or_b64 exec, exec, s[2:3]
	v_cmp_lt_i32_e32 vcc, v1, v0
	s_and_saveexec_b64 s[6:7], vcc
	s_cbranch_execz .LBB1_772
	s_branch .LBB1_765
.LBB1_762:                              ;   in Loop: Header=BB1_752 Depth=2
	s_andn2_b64 vcc, exec, s[0:1]
	s_cbranch_vccnz .LBB1_760
.LBB1_763:                              ;   in Loop: Header=BB1_752 Depth=2
	v_ashrrev_i32_e32 v0, 31, v1
	v_lshrrev_b32_e32 v0, 30, v0
	v_add_u32_e32 v0, v1, v0
	s_lshl_b32 s0, s13, 2
	v_ashrrev_i32_e32 v2, 2, v0
	v_and_b32_e32 v0, -4, v0
	v_sub_u32_e32 v3, v1, v0
	v_mov_b32_e32 v4, 64
	v_mov_b32_e32 v0, s0
	v_cmp_eq_u32_e64 s[0:1], 0, v1
	s_and_saveexec_b64 s[2:3], s[0:1]
	s_cbranch_execnz .LBB1_761
.LBB1_764:                              ;   in Loop: Header=BB1_752 Depth=2
	s_or_b64 exec, exec, s[2:3]
	v_cmp_lt_i32_e32 vcc, v1, v0
	s_and_saveexec_b64 s[6:7], vcc
	s_cbranch_execz .LBB1_772
.LBB1_765:                              ;   in Loop: Header=BB1_752 Depth=2
	ds_read_u8 v0, v43 offset:32920
	v_add_u32_e32 v5, v57, v2
	ds_read_u8 v6, v5
	v_lshlrev_b32_e32 v5, 4, v3
	s_waitcnt lgkmcnt(0)
	v_cmp_ne_u32_e64 s[2:3], 0, v0
	s_and_b64 vcc, exec, s[2:3]
	s_cbranch_vccz .LBB1_768
; %bb.766:                              ;   in Loop: Header=BB1_752 Depth=2
	s_mov_b64 s[10:11], -1
	s_and_b64 vcc, exec, s[2:3]
                                        ; implicit-def: $vgpr12_vgpr13_vgpr14_vgpr15
                                        ; implicit-def: $vgpr0
	s_cbranch_vccz .LBB1_769
.LBB1_767:                              ;   in Loop: Header=BB1_752 Depth=2
	ds_read_b32 v7, v43 offset:32924
	ds_read_b64 v[12:13], v43 offset:32928
	v_mul_u32_u24_e32 v6, v4, v6
	v_lshlrev_b32_e32 v0, 4, v3
	v_add3_u32 v3, v0, s5, v6
	s_waitcnt lgkmcnt(0)
	v_and_b32_e32 v42, v7, v3
	v_lshl_add_u64 v[6:7], v[12:13], 0, v[42:43]
	flat_load_dwordx4 v[12:15], v[6:7]
	s_cbranch_execz .LBB1_770
	s_branch .LBB1_771
.LBB1_768:                              ;   in Loop: Header=BB1_752 Depth=2
	v_mul_u32_u24_e32 v0, v4, v6
	v_lshlrev_b32_e32 v7, 4, v3
	v_add3_u32 v0, v7, s5, v0
	global_load_dwordx4 v[8:11], v0, s[36:37]
	s_mov_b64 s[10:11], -1
	s_and_b64 vcc, exec, s[2:3]
                                        ; implicit-def: $vgpr12_vgpr13_vgpr14_vgpr15
                                        ; implicit-def: $vgpr0
	s_cbranch_vccnz .LBB1_767
.LBB1_769:                              ;   in Loop: Header=BB1_752 Depth=2
	s_andn2_b64 vcc, exec, s[10:11]
	s_cbranch_vccnz .LBB1_771
.LBB1_770:                              ;   in Loop: Header=BB1_752 Depth=2
	s_waitcnt vmcnt(0) lgkmcnt(0)
	v_mov_b64_e32 v[14:15], v[10:11]
	v_mov_b32_e32 v0, v5
	v_mov_b64_e32 v[12:13], v[8:9]
.LBB1_771:                              ;   in Loop: Header=BB1_752 Depth=2
	v_add_u32_e32 v2, s12, v2
	s_waitcnt vmcnt(0) lgkmcnt(0)
	v_mov_b64_e32 v[8:9], v[12:13]
	v_mad_u64_u32 v[2:3], s[2:3], v2, v4, v[0:1]
	v_mov_b64_e32 v[10:11], v[14:15]
	ds_write_b128 v2, v[12:15] offset:36560
.LBB1_772:                              ;   in Loop: Header=BB1_752 Depth=2
	s_or_b64 exec, exec, s[6:7]
	s_bitcmp0_b32 s4, 14
	s_cselect_b64 s[2:3], -1, 0
	s_mov_b64 s[6:7], -1
	s_and_b64 vcc, exec, s[2:3]
	v_readfirstlane_b32 s5, v0
                                        ; implicit-def: $vgpr0
	s_cbranch_vccnz .LBB1_774
; %bb.773:                              ;   in Loop: Header=BB1_752 Depth=2
	v_mov_b32_e32 v0, s68
	v_cmp_gt_i32_e32 vcc, 64, v1
	s_and_b32 s5, s4, 0x3fff
	s_add_i32 s5, s5, s8
	v_cndmask_b32_e32 v0, 0, v0, vcc
	v_add3_u32 v0, v1, v0, s71
	s_add_i32 s12, s12, s13
	s_cbranch_execnz .LBB1_751
	s_branch .LBB1_775
.LBB1_774:                              ;   in Loop: Header=BB1_752 Depth=2
	s_andn2_b64 vcc, exec, s[6:7]
	s_add_i32 s12, s12, s13
	s_cbranch_vccnz .LBB1_751
.LBB1_775:                              ;   in Loop: Header=BB1_752 Depth=2
	s_and_saveexec_b64 s[6:7], s[0:1]
	s_cbranch_execz .LBB1_750
; %bb.776:                              ;   in Loop: Header=BB1_752 Depth=2
	s_and_b32 s0, s4, 0x3fff
	s_add_i32 s1, s0, s8
	s_cmp_lg_u32 s0, 0
	s_cselect_b32 s0, s1, -1
	v_mov_b32_e32 v0, s8
	v_mov_b32_e32 v1, s0
	ds_write_b64 v43, v[0:1] offset:33440
	v_mov_b32_e32 v0, s9
	ds_write_b8 v43, v0 offset:33448
	v_mov_b32_e32 v0, s12
	s_lshr_b32 s0, s4, 17
	ds_write_b32 v43, v0 offset:33452
	v_mov_b32_e32 v0, s0
	v_mov_b32_e32 v1, 0
	ds_write_b16 v43, v0 offset:33450
	s_branch .LBB1_750
	.section	.rodata,"a",@progbits
	.p2align	6, 0x0
	.amdhsa_kernel _Z23ncclDevKernel_Generic_224ncclDevKernelArgsStorageILm4096EE
		.amdhsa_group_segment_fixed_size 37600
		.amdhsa_private_segment_fixed_size 0
		.amdhsa_kernarg_size 4352
		.amdhsa_user_sgpr_count 8
		.amdhsa_user_sgpr_dispatch_ptr 1
		.amdhsa_user_sgpr_queue_ptr 1
		.amdhsa_user_sgpr_kernarg_segment_ptr 1
		.amdhsa_user_sgpr_dispatch_id 1
		.amdhsa_user_sgpr_kernarg_preload_length 0
		.amdhsa_user_sgpr_kernarg_preload_offset 0
		.amdhsa_user_sgpr_private_segment_size 0
		.amdhsa_uses_dynamic_stack 1
		.amdhsa_enable_private_segment 1
		.amdhsa_system_sgpr_workgroup_id_x 1
		.amdhsa_system_sgpr_workgroup_id_y 1
		.amdhsa_system_sgpr_workgroup_id_z 1
		.amdhsa_system_sgpr_workgroup_info 0
		.amdhsa_system_vgpr_workitem_id 2
		.amdhsa_next_free_vgpr max(totalnumvgprs(_Z23ncclDevKernel_Generic_224ncclDevKernelArgsStorageILm4096EE.num_agpr, _Z23ncclDevKernel_Generic_224ncclDevKernelArgsStorageILm4096EE.num_vgpr), 1, 0)
		.amdhsa_next_free_sgpr max(_Z23ncclDevKernel_Generic_224ncclDevKernelArgsStorageILm4096EE.numbered_sgpr+6, 1, 0)-6
		.amdhsa_accum_offset (((((alignto(max(1, _Z23ncclDevKernel_Generic_224ncclDevKernelArgsStorageILm4096EE.num_vgpr), 4)/4)-1)&~65536)&63)+1)*4
		.amdhsa_reserve_vcc 1
		.amdhsa_float_round_mode_32 0
		.amdhsa_float_round_mode_16_64 0
		.amdhsa_float_denorm_mode_32 3
		.amdhsa_float_denorm_mode_16_64 3
		.amdhsa_dx10_clamp 1
		.amdhsa_ieee_mode 1
		.amdhsa_fp16_overflow 0
		.amdhsa_tg_split 0
		.amdhsa_exception_fp_ieee_invalid_op 0
		.amdhsa_exception_fp_denorm_src 0
		.amdhsa_exception_fp_ieee_div_zero 0
		.amdhsa_exception_fp_ieee_overflow 0
		.amdhsa_exception_fp_ieee_underflow 0
		.amdhsa_exception_fp_ieee_inexact 0
		.amdhsa_exception_int_div_zero 0
	.end_amdhsa_kernel
	.text
.Lfunc_end1:
	.size	_Z23ncclDevKernel_Generic_224ncclDevKernelArgsStorageILm4096EE, .Lfunc_end1-_Z23ncclDevKernel_Generic_224ncclDevKernelArgsStorageILm4096EE
                                        ; -- End function
	.set _Z23ncclDevKernel_Generic_224ncclDevKernelArgsStorageILm4096EE.num_vgpr, max(60, amdgpu.max_num_vgpr)
	.set _Z23ncclDevKernel_Generic_224ncclDevKernelArgsStorageILm4096EE.num_agpr, max(0, amdgpu.max_num_agpr)
	.set _Z23ncclDevKernel_Generic_224ncclDevKernelArgsStorageILm4096EE.numbered_sgpr, max(82, amdgpu.max_num_sgpr)
	.set _Z23ncclDevKernel_Generic_224ncclDevKernelArgsStorageILm4096EE.num_named_barrier, max(0, amdgpu.max_num_named_barrier)
	.set _Z23ncclDevKernel_Generic_224ncclDevKernelArgsStorageILm4096EE.private_seg_size, 0
	.set _Z23ncclDevKernel_Generic_224ncclDevKernelArgsStorageILm4096EE.uses_vcc, 1
	.set _Z23ncclDevKernel_Generic_224ncclDevKernelArgsStorageILm4096EE.uses_flat_scratch, 1
	.set _Z23ncclDevKernel_Generic_224ncclDevKernelArgsStorageILm4096EE.has_dyn_sized_stack, 1
	.set _Z23ncclDevKernel_Generic_224ncclDevKernelArgsStorageILm4096EE.has_recursion, 1
	.set _Z23ncclDevKernel_Generic_224ncclDevKernelArgsStorageILm4096EE.has_indirect_call, 1
	.section	.AMDGPU.csdata,"",@progbits
; Kernel info:
; codeLenInByte = 19256
; TotalNumSgprs: _Z23ncclDevKernel_Generic_224ncclDevKernelArgsStorageILm4096EE.numbered_sgpr+6
; NumVgprs: _Z23ncclDevKernel_Generic_224ncclDevKernelArgsStorageILm4096EE.num_vgpr
; NumAgprs: _Z23ncclDevKernel_Generic_224ncclDevKernelArgsStorageILm4096EE.num_agpr
; TotalNumVgprs: totalnumvgprs(_Z23ncclDevKernel_Generic_224ncclDevKernelArgsStorageILm4096EE.num_agpr, _Z23ncclDevKernel_Generic_224ncclDevKernelArgsStorageILm4096EE.num_vgpr)
; ScratchSize: 0
; MemoryBound: 0
; FloatMode: 240
; IeeeMode: 1
; LDSByteSize: 37600 bytes/workgroup (compile time only)
; SGPRBlocks: (alignto(max(max(_Z23ncclDevKernel_Generic_224ncclDevKernelArgsStorageILm4096EE.numbered_sgpr+extrasgprs(_Z23ncclDevKernel_Generic_224ncclDevKernelArgsStorageILm4096EE.uses_vcc, _Z23ncclDevKernel_Generic_224ncclDevKernelArgsStorageILm4096EE.uses_flat_scratch, 1), 1, 0), 1), 8)/8)-1
; VGPRBlocks: (alignto(max(max(totalnumvgprs(_Z23ncclDevKernel_Generic_224ncclDevKernelArgsStorageILm4096EE.num_agpr, _Z23ncclDevKernel_Generic_224ncclDevKernelArgsStorageILm4096EE.num_vgpr), 1, 0), 1), 8)/8)-1
; NumSGPRsForWavesPerEU: max(_Z23ncclDevKernel_Generic_224ncclDevKernelArgsStorageILm4096EE.numbered_sgpr+6, 1, 0)
; NumVGPRsForWavesPerEU: max(totalnumvgprs(_Z23ncclDevKernel_Generic_224ncclDevKernelArgsStorageILm4096EE.num_agpr, _Z23ncclDevKernel_Generic_224ncclDevKernelArgsStorageILm4096EE.num_vgpr), 1, 0)
; AccumOffset: ((alignto(max(1, _Z23ncclDevKernel_Generic_224ncclDevKernelArgsStorageILm4096EE.num_vgpr), 4)/4)-1+1)*4
; Occupancy: occupancy(8, 8, 512, 8, 8, max(_Z23ncclDevKernel_Generic_224ncclDevKernelArgsStorageILm4096EE.numbered_sgpr+extrasgprs(_Z23ncclDevKernel_Generic_224ncclDevKernelArgsStorageILm4096EE.uses_vcc, _Z23ncclDevKernel_Generic_224ncclDevKernelArgsStorageILm4096EE.uses_flat_scratch, 1), 1, 0), max(totalnumvgprs(_Z23ncclDevKernel_Generic_224ncclDevKernelArgsStorageILm4096EE.num_agpr, _Z23ncclDevKernel_Generic_224ncclDevKernelArgsStorageILm4096EE.num_vgpr), 1, 0))
; WaveLimiterHint : 0
; COMPUTE_PGM_RSRC2:SCRATCH_EN: 1
; COMPUTE_PGM_RSRC2:USER_SGPR: 8
; COMPUTE_PGM_RSRC2:TRAP_HANDLER: 0
; COMPUTE_PGM_RSRC2:TGID_X_EN: 1
; COMPUTE_PGM_RSRC2:TGID_Y_EN: 1
; COMPUTE_PGM_RSRC2:TGID_Z_EN: 1
; COMPUTE_PGM_RSRC2:TIDIG_COMP_CNT: 2
; COMPUTE_PGM_RSRC3_GFX90A:ACCUM_OFFSET: (((alignto(max(1, _Z23ncclDevKernel_Generic_224ncclDevKernelArgsStorageILm4096EE.num_vgpr), 4)/4)-1)&~65536)&63
; COMPUTE_PGM_RSRC3_GFX90A:TG_SPLIT: 0
	.text
	.protected	_Z23ncclDevKernel_Generic_424ncclDevKernelArgsStorageILm4096EE ; -- Begin function _Z23ncclDevKernel_Generic_424ncclDevKernelArgsStorageILm4096EE
	.globl	_Z23ncclDevKernel_Generic_424ncclDevKernelArgsStorageILm4096EE
	.p2align	8
	.type	_Z23ncclDevKernel_Generic_424ncclDevKernelArgsStorageILm4096EE,@function
_Z23ncclDevKernel_Generic_424ncclDevKernelArgsStorageILm4096EE: ; @_Z23ncclDevKernel_Generic_424ncclDevKernelArgsStorageILm4096EE
; %bb.0:
	v_mov_b32_e32 v40, v0
	v_and_b32_e32 v7, 0x3ff, v40
	s_mov_b32 s33, s10
	s_mov_b32 s54, s9
	;; [unrolled: 1-line block ×3, first 2 shown]
	s_mov_b64 s[34:35], s[6:7]
	s_mov_b64 s[36:37], s[4:5]
	;; [unrolled: 1-line block ×4, first 2 shown]
	v_cmp_gt_u32_e32 vcc, 12, v7
	s_mov_b32 s32, 0
	s_and_saveexec_b64 s[0:1], vcc
	s_cbranch_execz .LBB2_2
; %bb.1:
	v_lshlrev_b32_e32 v0, 2, v7
	global_load_dword v1, v0, s[36:37]
	s_waitcnt vmcnt(0)
	ds_write_b32 v0, v1 offset:32896
.LBB2_2:
	s_or_b64 exec, exec, s[0:1]
	s_load_dword s14, s[36:37], 0x100c
	v_lshrrev_b32_e32 v8, 6, v7
	v_cmp_lt_i32_e32 vcc, 0, v8
	s_and_saveexec_b64 s[0:1], vcc
	s_xor_b64 s[0:1], exec, s[0:1]
	s_cbranch_execz .LBB2_16
; %bb.3:
	v_cmp_lt_i32_e32 vcc, 2, v8
	s_and_saveexec_b64 s[2:3], vcc
	s_xor_b64 s[2:3], exec, s[2:3]
	s_cbranch_execz .LBB2_8
; %bb.4:
	v_cmp_eq_u32_e32 vcc, 3, v8
	s_and_saveexec_b64 s[4:5], vcc
	s_cbranch_execz .LBB2_7
; %bb.5:
	s_movk_i32 s6, 0xc0
	v_cmp_eq_u32_e32 vcc, s6, v7
	s_and_b64 exec, exec, vcc
; %bb.6:
	v_mov_b32_e32 v0, 0
	ds_write_b32 v0, v0 offset:32948
.LBB2_7:
	s_or_b64 exec, exec, s[4:5]
.LBB2_8:
	s_andn2_saveexec_b64 s[2:3], s[2:3]
	s_cbranch_execz .LBB2_15
; %bb.9:
	v_cmp_eq_u32_e32 vcc, 1, v8
	s_and_saveexec_b64 s[4:5], vcc
	s_cbranch_execz .LBB2_14
; %bb.10:
	s_movk_i32 s6, 0x48
	v_cmp_gt_u32_e32 vcc, s6, v7
	s_and_b64 exec, exec, vcc
	s_cbranch_execz .LBB2_14
; %bb.11:
	v_cmp_eq_u32_e32 vcc, 64, v7
	s_and_saveexec_b64 s[6:7], vcc
; %bb.12:
	v_mov_b32_e32 v0, 0
	v_mov_b32_e32 v1, v0
	ds_write_b64 v0, v[0:1] offset:37592
; %bb.13:
	s_or_b64 exec, exec, s[6:7]
	v_mov_b32_e32 v2, 0
	v_mul_u32_u24_e32 v0, 0x160, v7
	v_mov_b32_e32 v3, v2
	ds_write_b64 v0, v[2:3] offset:11224
.LBB2_14:
	s_or_b64 exec, exec, s[4:5]
.LBB2_15:
	s_or_b64 exec, exec, s[2:3]
.LBB2_16:
	s_andn2_saveexec_b64 s[0:1], s[0:1]
	s_cbranch_execz .LBB2_22
; %bb.17:
	s_load_dwordx2 s[4:5], s[36:37], 0x8
	v_lshlrev_b64 v[2:3], v7, 1
	s_mov_b64 s[2:3], 0
	v_lshl_add_u64 v[0:1], v[2:3], 0, -1
	s_waitcnt lgkmcnt(0)
	v_and_b32_e32 v5, s5, v3
	v_and_b32_e32 v4, s4, v2
	v_cmp_eq_u64_e64 s[8:9], 0, v[4:5]
	v_cmp_ne_u64_e32 vcc, 0, v[4:5]
	s_and_saveexec_b64 s[6:7], vcc
	s_cbranch_execz .LBB2_54
; %bb.18:
	v_and_b32_e32 v5, s4, v0
	v_and_b32_e32 v4, s5, v1
	v_bcnt_u32_b32 v5, v5, 0
	v_bcnt_u32_b32 v4, v4, v5
	v_cmp_ne_u32_e32 vcc, s55, v4
	s_andn2_b64 s[8:9], s[8:9], exec
	s_and_b64 s[10:11], vcc, exec
	s_mov_b64 s[2:3], exec
	s_or_b64 s[8:9], s[8:9], s[10:11]
	s_or_b64 exec, exec, s[6:7]
	v_mov_b32_e32 v4, 0
	s_and_saveexec_b64 s[6:7], s[8:9]
	s_cbranch_execnz .LBB2_55
.LBB2_19:
	s_or_b64 exec, exec, s[6:7]
	s_and_saveexec_b64 s[4:5], s[2:3]
.LBB2_20:
	v_add_u32_e32 v0, v4, v7
	v_mov_b32_e32 v1, 0
	ds_write_b32 v1, v0 offset:32944
.LBB2_21:
	s_or_b64 exec, exec, s[4:5]
.LBB2_22:
	s_or_b64 exec, exec, s[0:1]
	v_cmp_eq_u32_e64 s[50:51], 0, v7
	s_waitcnt lgkmcnt(0)
	s_barrier
	s_and_saveexec_b64 s[0:1], s[50:51]
	s_cbranch_execz .LBB2_24
; %bb.23:
	v_mov_b32_e32 v4, 0
	ds_read_b32 v2, v4 offset:32944
	ds_read_b64 v[0:1], v4 offset:32896
	s_movk_i32 s2, 0x180
	s_waitcnt lgkmcnt(1)
	v_mul_hi_i32 v3, v2, s2
	v_mul_lo_u32 v2, v2, s2
	s_waitcnt lgkmcnt(0)
	v_lshl_add_u64 v[0:1], v[0:1], 0, v[2:3]
	flat_load_dwordx2 v[0:1], v[0:1] offset:464
	ds_write_b32 v4, v4 offset:32948
	s_waitcnt vmcnt(0) lgkmcnt(0)
	ds_write_b64 v4, v[0:1] offset:33424
.LBB2_24:
	s_or_b64 exec, exec, s[0:1]
	s_and_b32 s68, 0xffff, s14
	v_cmp_lt_i32_e32 vcc, 0, v8
	s_and_saveexec_b64 s[0:1], vcc
	s_xor_b64 s[4:5], exec, s[0:1]
	s_cbranch_execz .LBB2_63
; %bb.25:
	v_cmp_ne_u32_e32 vcc, 1, v8
	s_and_saveexec_b64 s[0:1], vcc
	s_xor_b64 s[6:7], exec, s[0:1]
	s_cbranch_execz .LBB2_58
; %bb.26:
	v_add_u32_e32 v11, 0xffffff80, v7
	v_ashrrev_i16_e32 v0, 15, v11
	v_lshrrev_b16_e32 v0, 10, v0
	v_add_u16_e32 v0, v11, v0
	v_and_b32_e32 v0, 0xffffffc0, v0
	v_sub_u16_e32 v9, v11, v0
	v_bfe_i32 v0, v9, 0, 16
	v_lshlrev_b64 v[0:1], v0, 1
	s_add_i32 s16, s68, 0xffffff80
	s_movk_i32 s17, 0xffc0
	v_mul_u32_u24_e32 v10, 0x1010, v8
	v_lshl_add_u64 v[2:3], v[0:1], 0, -1
	s_mov_b32 s18, 0
	v_mov_b32_e32 v5, 0
	s_mov_b32 s19, 0x66666667
	s_mov_b32 s8, s55
                                        ; implicit-def: $vgpr16_vgpr17_vgpr18_vgpr19
	s_branch .LBB2_29
.LBB2_27:                               ;   in Loop: Header=BB2_29 Depth=1
	s_or_b64 exec, exec, s[12:13]
	s_mov_b32 s11, s8
	v_mov_b32_e32 v4, v11
.LBB2_28:                               ;   in Loop: Header=BB2_29 Depth=1
	s_andn2_b64 vcc, exec, s[2:3]
	s_mov_b32 s8, s11
	v_mov_b32_e32 v11, v4
	s_cbranch_vccz .LBB2_58
.LBB2_29:                               ; =>This Inner Loop Header: Depth=1
	s_ashr_i32 s9, s8, 31
	s_lshl_b64 s[0:1], s[8:9], 4
	s_add_u32 s0, s36, s0
	s_addc_u32 s1, s37, s1
	s_load_dwordx2 s[2:3], s[0:1], 0x38
	s_waitcnt lgkmcnt(0)
	v_and_b32_e32 v13, s3, v1
	v_and_b32_e32 v12, s2, v0
	v_cmp_ne_u64_e32 vcc, 0, v[12:13]
	s_and_saveexec_b64 s[10:11], vcc
	s_cbranch_execz .LBB2_31
; %bb.30:                               ;   in Loop: Header=BB2_29 Depth=1
	v_and_b32_e32 v6, s2, v2
	v_and_b32_e32 v4, s3, v3
	v_bcnt_u32_b32 v6, v6, 0
	v_bcnt_u32_b32 v4, v4, v6
	v_add_u32_e32 v4, v10, v4
	ds_write_b8 v4, v9
.LBB2_31:                               ;   in Loop: Header=BB2_29 Depth=1
	s_or_b64 exec, exec, s[10:11]
	s_load_dwordx2 s[10:11], s[0:1], 0x30
	s_bcnt1_i32_b64 s20, s[2:3]
	s_mov_b64 s[0:1], -1
                                        ; implicit-def: $vgpr12
                                        ; implicit-def: $vgpr13
                                        ; implicit-def: $vgpr4
                                        ; implicit-def: $vgpr14
	s_waitcnt lgkmcnt(0)
	s_bfe_u32 s9, s10, 0x2000f
	s_cmp_lt_i32 s9, 1
	s_cbranch_scc1 .LBB2_39
; %bb.32:                               ;   in Loop: Header=BB2_29 Depth=1
	s_cmp_lg_u32 s9, 1
                                        ; implicit-def: $vgpr12
                                        ; implicit-def: $vgpr13
                                        ; implicit-def: $vgpr4
	s_cbranch_scc0 .LBB2_34
; %bb.33:                               ;   in Loop: Header=BB2_29 Depth=1
	v_mul_hi_i32 v6, v11, s19
	v_lshrrev_b32_e32 v12, 31, v6
	v_ashrrev_i32_e32 v6, 3, v6
	v_add_u32_e32 v12, v6, v12
	v_mul_lo_u32 v6, v12, 20
	v_mul_u32_u24_e64 v4, s20, 20
	v_sub_u32_e32 v13, v11, v6
	s_mov_b64 s[0:1], 0
.LBB2_34:                               ;   in Loop: Header=BB2_29 Depth=1
	s_andn2_b64 vcc, exec, s[0:1]
	s_movk_i32 s2, 0x140
	s_cbranch_vccnz .LBB2_36
; %bb.35:                               ;   in Loop: Header=BB2_29 Depth=1
	v_ashrrev_i32_e32 v4, 31, v11
	v_lshrrev_b32_e32 v4, 29, v4
	v_add_u32_e32 v4, v11, v4
	s_lshl_b32 s0, s20, 3
	v_ashrrev_i32_e32 v12, 3, v4
	v_and_b32_e32 v4, -8, v4
	v_sub_u32_e32 v13, v11, v4
	s_movk_i32 s2, 0x80
	v_mov_b32_e32 v4, s0
.LBB2_36:                               ;   in Loop: Header=BB2_29 Depth=1
	v_mov_b32_e32 v14, s2
	s_cbranch_execz .LBB2_40
.LBB2_37:                               ;   in Loop: Header=BB2_29 Depth=1
	v_cmp_eq_u32_e64 s[0:1], 0, v11
	s_and_saveexec_b64 s[2:3], s[0:1]
	s_cbranch_execz .LBB2_41
.LBB2_38:                               ;   in Loop: Header=BB2_29 Depth=1
	ds_write_b32 v5, v14 offset:33456
	s_or_b64 exec, exec, s[2:3]
	v_cmp_lt_i32_e32 vcc, v11, v4
	s_and_saveexec_b64 s[12:13], vcc
	s_cbranch_execz .LBB2_49
	s_branch .LBB2_42
.LBB2_39:                               ;   in Loop: Header=BB2_29 Depth=1
	s_andn2_b64 vcc, exec, s[0:1]
	s_cbranch_vccnz .LBB2_37
.LBB2_40:                               ;   in Loop: Header=BB2_29 Depth=1
	v_ashrrev_i32_e32 v4, 31, v11
	v_lshrrev_b32_e32 v4, 30, v4
	v_add_u32_e32 v4, v11, v4
	s_lshl_b32 s0, s20, 2
	v_ashrrev_i32_e32 v12, 2, v4
	v_and_b32_e32 v4, -4, v4
	v_sub_u32_e32 v13, v11, v4
	v_mov_b32_e32 v14, 64
	v_mov_b32_e32 v4, s0
	v_cmp_eq_u32_e64 s[0:1], 0, v11
	s_and_saveexec_b64 s[2:3], s[0:1]
	s_cbranch_execnz .LBB2_38
.LBB2_41:                               ;   in Loop: Header=BB2_29 Depth=1
	s_or_b64 exec, exec, s[2:3]
	v_cmp_lt_i32_e32 vcc, v11, v4
	s_and_saveexec_b64 s[12:13], vcc
	s_cbranch_execz .LBB2_49
.LBB2_42:                               ;   in Loop: Header=BB2_29 Depth=1
	ds_read_u8 v6, v5 offset:32920
	v_add_u32_e32 v4, v10, v12
	ds_read_u8 v4, v4
	s_waitcnt lgkmcnt(1)
	v_cmp_ne_u32_e64 s[2:3], 0, v6
	s_and_b64 vcc, exec, s[2:3]
	s_cbranch_vccz .LBB2_45
; %bb.43:                               ;   in Loop: Header=BB2_29 Depth=1
	s_mov_b64 s[14:15], -1
	s_and_b64 vcc, exec, s[2:3]
                                        ; implicit-def: $vgpr20_vgpr21_vgpr22_vgpr23
                                        ; implicit-def: $vgpr6
	s_cbranch_vccz .LBB2_46
.LBB2_44:                               ;   in Loop: Header=BB2_29 Depth=1
	ds_read_b32 v15, v5 offset:32924
	ds_read_b64 v[20:21], v5 offset:32928
	s_waitcnt lgkmcnt(2)
	v_mul_u32_u24_e32 v4, v14, v4
	v_lshlrev_b32_e32 v6, 4, v13
	v_add3_u32 v4, v6, s11, v4
	s_waitcnt lgkmcnt(1)
	v_and_b32_e32 v4, v15, v4
	s_waitcnt lgkmcnt(0)
	v_lshl_add_u64 v[20:21], v[20:21], 0, v[4:5]
	flat_load_dwordx4 v[20:23], v[20:21]
	s_cbranch_execz .LBB2_47
	s_branch .LBB2_48
.LBB2_45:                               ;   in Loop: Header=BB2_29 Depth=1
	s_waitcnt lgkmcnt(0)
	v_mul_u32_u24_e32 v6, v14, v4
	v_lshlrev_b32_e32 v15, 4, v13
	v_add3_u32 v6, v15, s11, v6
	global_load_dwordx4 v[16:19], v6, s[36:37]
	s_mov_b64 s[14:15], -1
	s_and_b64 vcc, exec, s[2:3]
                                        ; implicit-def: $vgpr20_vgpr21_vgpr22_vgpr23
                                        ; implicit-def: $vgpr6
	s_cbranch_vccnz .LBB2_44
.LBB2_46:                               ;   in Loop: Header=BB2_29 Depth=1
	s_andn2_b64 vcc, exec, s[14:15]
	s_cbranch_vccnz .LBB2_48
.LBB2_47:                               ;   in Loop: Header=BB2_29 Depth=1
	s_waitcnt vmcnt(0) lgkmcnt(0)
	v_mov_b64_e32 v[22:23], v[18:19]
	v_lshlrev_b32_e32 v6, 4, v13
	v_mov_b64_e32 v[20:21], v[16:17]
.LBB2_48:                               ;   in Loop: Header=BB2_29 Depth=1
	s_waitcnt lgkmcnt(0)
	v_add_u32_e32 v4, s18, v12
	s_waitcnt vmcnt(0)
	v_mov_b64_e32 v[16:17], v[20:21]
	v_mad_u64_u32 v[12:13], s[2:3], v4, v14, v[6:7]
	v_mov_b64_e32 v[18:19], v[22:23]
	ds_write_b128 v12, v[20:23] offset:36560
.LBB2_49:                               ;   in Loop: Header=BB2_29 Depth=1
	s_or_b64 exec, exec, s[12:13]
	s_bitcmp0_b32 s10, 14
	s_cselect_b64 s[2:3], -1, 0
	s_mov_b64 s[12:13], -1
	s_and_b64 vcc, exec, s[2:3]
	v_readfirstlane_b32 s11, v0
                                        ; implicit-def: $vgpr4
	s_cbranch_vccnz .LBB2_51
; %bb.50:                               ;   in Loop: Header=BB2_29 Depth=1
	v_mov_b32_e32 v4, s16
	v_cmp_gt_i32_e32 vcc, 64, v11
	s_and_b32 s11, s10, 0x3fff
	s_add_i32 s11, s11, s8
	v_cndmask_b32_e32 v4, 0, v4, vcc
	v_add3_u32 v4, v11, v4, s17
	s_add_i32 s18, s18, s20
	s_cbranch_execnz .LBB2_28
	s_branch .LBB2_52
.LBB2_51:                               ;   in Loop: Header=BB2_29 Depth=1
	s_andn2_b64 vcc, exec, s[12:13]
	s_add_i32 s18, s18, s20
	s_cbranch_vccnz .LBB2_28
.LBB2_52:                               ;   in Loop: Header=BB2_29 Depth=1
	s_and_saveexec_b64 s[12:13], s[0:1]
	s_cbranch_execz .LBB2_27
; %bb.53:                               ;   in Loop: Header=BB2_29 Depth=1
	s_and_b32 s0, s10, 0x3fff
	s_add_i32 s1, s0, s8
	s_cmp_lg_u32 s0, 0
	s_cselect_b32 s0, s1, -1
	v_mov_b32_e32 v4, s9
	v_mov_b32_e32 v13, s0
	ds_write_b8 v5, v4 offset:33448
	v_mov_b32_e32 v4, s18
	s_lshr_b32 s0, s10, 17
	v_mov_b32_e32 v12, s8
	ds_write_b32 v5, v4 offset:33452
	v_mov_b32_e32 v4, s0
	v_mov_b32_e32 v11, 0
	ds_write_b64 v5, v[12:13] offset:33440
	ds_write_b16 v5, v4 offset:33450
	s_branch .LBB2_27
.LBB2_54:
	s_or_b64 exec, exec, s[6:7]
	v_mov_b32_e32 v4, 0
	s_and_saveexec_b64 s[6:7], s[8:9]
	s_cbranch_execz .LBB2_19
.LBB2_55:
	s_load_dwordx2 s[12:13], s[36:37], 0x10
	s_mov_b64 s[8:9], 0
                                        ; implicit-def: $sgpr15
	s_waitcnt lgkmcnt(0)
	v_and_b32_e32 v3, s13, v3
	v_and_b32_e32 v2, s12, v2
	v_cmp_ne_u64_e32 vcc, 0, v[2:3]
	s_and_saveexec_b64 s[10:11], vcc
	s_xor_b64 s[10:11], exec, s[10:11]
; %bb.56:
	v_and_b32_e32 v0, s12, v0
	v_and_b32_e32 v1, s13, v1
	v_bcnt_u32_b32 v0, v0, 0
	s_bcnt1_i32_b64 s15, s[4:5]
	v_bcnt_u32_b32 v0, v1, v0
	v_add_u32_e32 v0, s15, v0
	v_cmp_eq_u32_e32 vcc, s55, v0
	s_and_b64 s[8:9], vcc, exec
; %bb.57:
	s_or_b64 exec, exec, s[10:11]
	s_andn2_b64 s[2:3], s[2:3], exec
	s_and_b64 s[4:5], s[8:9], exec
	v_mov_b32_e32 v4, s15
	s_or_b64 s[2:3], s[2:3], s[4:5]
	s_or_b64 exec, exec, s[6:7]
	s_and_saveexec_b64 s[4:5], s[2:3]
	s_cbranch_execnz .LBB2_20
	s_branch .LBB2_21
.LBB2_58:
	s_andn2_saveexec_b64 s[0:1], s[6:7]
	s_cbranch_execz .LBB2_62
; %bb.59:
	s_movk_i32 s2, 0x58
	v_cmp_gt_u32_e32 vcc, s2, v7
	s_and_saveexec_b64 s[2:3], vcc
	s_cbranch_execz .LBB2_61
; %bb.60:
	v_mov_b32_e32 v0, 0
	ds_read_b32 v2, v0 offset:32944
	ds_read_b64 v[0:1], v0 offset:32896
	s_movk_i32 s6, 0x180
	v_lshlrev_b32_e32 v4, 4, v7
	s_waitcnt lgkmcnt(1)
	v_mul_hi_i32 v3, v2, s6
	v_mul_lo_u32 v2, v2, s6
	s_waitcnt lgkmcnt(0)
	v_lshl_add_u64 v[0:1], v[0:1], 0, v[2:3]
	v_add_u32_e32 v2, 0xfffffc00, v4
	v_ashrrev_i32_e32 v3, 31, v2
	v_lshl_add_u64 v[0:1], v[0:1], 0, v[2:3]
	flat_load_dwordx4 v[0:3], v[0:1] offset:96
	s_waitcnt vmcnt(0) lgkmcnt(0)
	ds_write_b128 v4, v[0:3] offset:32032
.LBB2_61:
	s_or_b64 exec, exec, s[2:3]
.LBB2_62:
	s_or_b64 exec, exec, s[0:1]
.LBB2_63:
	s_andn2_saveexec_b64 s[0:1], s[4:5]
	s_cbranch_execz .LBB2_67
; %bb.64:
	v_cmp_gt_u32_e32 vcc, 6, v7
	s_and_saveexec_b64 s[2:3], vcc
	s_cbranch_execz .LBB2_66
; %bb.65:
	v_mov_b32_e32 v5, 0
	ds_read_b64 v[0:1], v5 offset:32896
	v_lshlrev_b32_e32 v4, 4, v7
	s_waitcnt lgkmcnt(0)
	v_lshl_add_u64 v[0:1], v[0:1], 0, v[4:5]
	flat_load_dwordx4 v[0:3], v[0:1]
	s_waitcnt vmcnt(0) lgkmcnt(0)
	ds_write_b128 v4, v[0:3] offset:32960
.LBB2_66:
	s_or_b64 exec, exec, s[2:3]
.LBB2_67:
	s_or_b64 exec, exec, s[0:1]
	v_mov_b32_e32 v43, 0
	s_waitcnt lgkmcnt(0)
	s_barrier
	ds_read_b32 v0, v43 offset:32948
	s_waitcnt lgkmcnt(0)
	v_cmp_ne_u32_e32 vcc, 0, v0
	s_cbranch_vccz .LBB2_80
.LBB2_68:
	s_and_saveexec_b64 s[0:1], s[50:51]
	s_cbranch_execz .LBB2_79
; %bb.69:
	v_mov_b32_e32 v5, 0
	ds_read_b64 v[2:3], v5 offset:33424
	ds_read_b32 v6, v5 offset:33452
	s_waitcnt lgkmcnt(0)
	v_lshl_add_u64 v[0:1], v[2:3], 0, 1
	v_ashrrev_i32_e32 v7, 31, v6
	v_lshl_add_u64 v[8:9], v[2:3], 0, v[6:7]
	v_cmp_gt_u64_e32 vcc, v[0:1], v[8:9]
	s_cbranch_vccnz .LBB2_78
; %bb.70:
	ds_read_u8 v10, v5 offset:33448
	s_mov_b32 s2, 0x8f0e
	s_mov_b32 s3, 0x8eda
	s_branch .LBB2_72
.LBB2_71:                               ;   in Loop: Header=BB2_72 Depth=1
	s_waitcnt lgkmcnt(0)
	v_ashrrev_i32_e32 v7, 31, v6
	v_lshl_add_u64 v[0:1], v[0:1], 0, 1
	v_lshl_add_u64 v[8:9], v[2:3], 0, v[6:7]
	v_cmp_le_u64_e32 vcc, v[0:1], v[8:9]
	s_add_i32 s2, s2, 64
	s_addk_i32 s3, 0x80
	s_cbranch_vccz .LBB2_78
.LBB2_72:                               ; =>This Inner Loop Header: Depth=1
	s_waitcnt lgkmcnt(0)
	v_cmp_ne_u32_sdwa s[0:1], v10, v5 src0_sel:BYTE_0 src1_sel:DWORD
	s_and_b64 vcc, exec, s[0:1]
	s_cbranch_vccz .LBB2_77
; %bb.73:                               ;   in Loop: Header=BB2_72 Depth=1
	v_mov_b32_e32 v4, s3
	ds_read_u8 v4, v4
	s_waitcnt lgkmcnt(0)
	v_and_b32_e32 v4, 1, v4
	s_cbranch_execnz .LBB2_75
.LBB2_74:                               ;   in Loop: Header=BB2_72 Depth=1
	v_mov_b32_e32 v4, s2
	ds_read_u16 v4, v4
	s_waitcnt lgkmcnt(0)
	v_bfe_u32 v4, v4, 6, 1
.LBB2_75:                               ;   in Loop: Header=BB2_72 Depth=1
	v_cmp_eq_u32_e32 vcc, 0, v4
	s_cbranch_vccnz .LBB2_71
; %bb.76:                               ;   in Loop: Header=BB2_72 Depth=1
	s_memrealtime s[0:1]
	ds_read_u8 v10, v5 offset:33448
	ds_read_b32 v2, v5 offset:32944
	ds_read_b64 v[6:7], v5 offset:33048
	v_and_b32_e32 v4, 63, v0
	v_lshlrev_b32_e32 v4, 4, v4
	s_waitcnt lgkmcnt(0)
	v_ashrrev_i32_e32 v3, 31, v2
	v_lshlrev_b64 v[2:3], 10, v[2:3]
	v_lshl_add_u64 v[2:3], v[6:7], 0, v[2:3]
	v_lshl_add_u64 v[6:7], v[2:3], 0, v[4:5]
	v_mov_b32_e32 v2, s0
	v_mov_b32_e32 v3, s1
	flat_store_dwordx4 v[6:7], v[0:3]
	ds_read_b64 v[2:3], v5 offset:33424
	ds_read_b32 v6, v5 offset:33452
	s_branch .LBB2_71
.LBB2_77:                               ;   in Loop: Header=BB2_72 Depth=1
                                        ; implicit-def: $vgpr4
	s_branch .LBB2_74
.LBB2_78:
	v_mov_b32_e32 v2, 0
	ds_read_b32 v4, v2 offset:32944
	ds_read_b64 v[0:1], v2 offset:32896
	s_movk_i32 s0, 0x180
	ds_write_b64 v2, v[8:9] offset:33424
	s_waitcnt lgkmcnt(0)
	v_mul_hi_i32 v3, v4, s0
	v_mul_lo_u32 v2, v4, s0
	v_lshl_add_u64 v[0:1], v[0:1], 0, v[2:3]
	flat_store_dwordx2 v[0:1], v[8:9] offset:464
.LBB2_79:
	s_endpgm
.LBB2_80:
	s_movk_i32 s0, 0x48
	v_cmp_eq_u32_e32 vcc, 1, v8
	v_cmp_gt_u32_e64 s[0:1], s0, v7
	s_and_b64 s[64:65], vcc, s[0:1]
	s_movk_i32 s0, 0x160
	v_mov_b32_e32 v0, 0x2bd8
	v_lshlrev_b64 v[44:45], v7, 1
	v_cmp_eq_u32_e64 s[52:53], 64, v7
	v_mad_u32_u24 v41, v7, s0, v0
	v_and_b32_e32 v56, 63, v7
	v_mul_u32_u24_e32 v57, 0x1010, v8
	v_lshl_add_u64 v[46:47], v[44:45], 0, -1
	s_movk_i32 s69, 0x58
	s_mov_b32 s70, 0x66666667
	s_movk_i32 s71, 0xffc0
	v_mov_b32_e32 v58, v43
	v_mov_b32_e32 v59, v43
	s_branch .LBB2_82
.LBB2_81:                               ;   in Loop: Header=BB2_82 Depth=1
	s_waitcnt lgkmcnt(0)
	s_barrier
	ds_read_b32 v0, v43 offset:32948
	s_waitcnt lgkmcnt(0)
	v_cmp_ne_u32_e64 s[0:1], 0, v0
	s_and_b64 vcc, exec, s[0:1]
	s_cbranch_vccnz .LBB2_68
.LBB2_82:                               ; =>This Loop Header: Depth=1
                                        ;     Child Loop BB2_86 Depth 2
                                        ;     Child Loop BB2_741 Depth 2
	;; [unrolled: 1-line block ×3, first 2 shown]
	s_and_saveexec_b64 s[0:1], s[50:51]
	s_cbranch_execz .LBB2_92
; %bb.83:                               ;   in Loop: Header=BB2_82 Depth=1
	ds_read_b64 v[2:3], v43 offset:33424
	ds_read_b32 v4, v43 offset:33452
	s_waitcnt lgkmcnt(0)
	v_lshl_add_u64 v[0:1], v[2:3], 0, 1
	s_waitcnt lgkmcnt(0)
	v_ashrrev_i32_e32 v5, 31, v4
	v_lshl_add_u64 v[6:7], v[2:3], 0, v[4:5]
	v_cmp_gt_u64_e32 vcc, v[0:1], v[6:7]
	s_cbranch_vccnz .LBB2_92
; %bb.84:                               ;   in Loop: Header=BB2_82 Depth=1
	ds_read_u8 v6, v43 offset:33448
	s_mov_b32 s4, 0x8f0e
	s_mov_b32 s5, 0x8eda
	s_branch .LBB2_86
.LBB2_85:                               ;   in Loop: Header=BB2_86 Depth=2
	s_waitcnt lgkmcnt(0)
	v_ashrrev_i32_e32 v5, 31, v4
	v_lshl_add_u64 v[0:1], v[0:1], 0, 1
	v_lshl_add_u64 v[8:9], v[2:3], 0, v[4:5]
	v_cmp_le_u64_e32 vcc, v[0:1], v[8:9]
	s_add_i32 s4, s4, 64
	s_addk_i32 s5, 0x80
	s_cbranch_vccz .LBB2_92
.LBB2_86:                               ;   Parent Loop BB2_82 Depth=1
                                        ; =>  This Inner Loop Header: Depth=2
	s_waitcnt lgkmcnt(0)
	v_cmp_ne_u32_sdwa s[2:3], v6, v43 src0_sel:BYTE_0 src1_sel:DWORD
	s_and_b64 vcc, exec, s[2:3]
	s_cbranch_vccz .LBB2_91
; %bb.87:                               ;   in Loop: Header=BB2_86 Depth=2
	v_mov_b32_e32 v5, s5
	ds_read_u8 v5, v5
	s_waitcnt lgkmcnt(0)
	v_and_b32_e32 v5, 1, v5
	s_cbranch_execnz .LBB2_89
.LBB2_88:                               ;   in Loop: Header=BB2_86 Depth=2
	v_mov_b32_e32 v5, s4
	ds_read_u16 v5, v5
	s_waitcnt lgkmcnt(0)
	v_bfe_u32 v5, v5, 6, 1
.LBB2_89:                               ;   in Loop: Header=BB2_86 Depth=2
	v_cmp_eq_u32_e32 vcc, 0, v5
	s_cbranch_vccnz .LBB2_85
; %bb.90:                               ;   in Loop: Header=BB2_86 Depth=2
	s_memrealtime s[2:3]
	ds_read_u8 v6, v43 offset:33448
	ds_read_b32 v2, v43 offset:32944
	ds_read_b64 v[4:5], v43 offset:33040
	v_and_b32_e32 v7, 63, v0
	v_lshlrev_b32_e32 v42, 4, v7
	s_waitcnt lgkmcnt(0)
	v_ashrrev_i32_e32 v3, 31, v2
	v_lshlrev_b64 v[2:3], 10, v[2:3]
	v_lshl_add_u64 v[2:3], v[4:5], 0, v[2:3]
	v_lshl_add_u64 v[4:5], v[2:3], 0, v[42:43]
	v_mov_b32_e32 v2, s2
	v_mov_b32_e32 v3, s3
	flat_store_dwordx4 v[4:5], v[0:3]
	ds_read_b64 v[2:3], v43 offset:33424
	ds_read_b32 v4, v43 offset:33452
	s_branch .LBB2_85
.LBB2_91:                               ;   in Loop: Header=BB2_86 Depth=2
                                        ; implicit-def: $vgpr5
	s_branch .LBB2_88
.LBB2_92:                               ;   in Loop: Header=BB2_82 Depth=1
	s_or_b64 exec, exec, s[0:1]
	ds_read_u16 v0, v43 offset:33450
	s_waitcnt lgkmcnt(0)
	v_cmp_gt_u32_sdwa s[0:1], v0, s69 src0_sel:WORD_0 src1_sel:DWORD
	v_readfirstlane_b32 s80, v0
	s_and_b64 vcc, exec, s[0:1]
	s_mov_b64 s[0:1], -1
	s_cbranch_vccz .LBB2_421
; %bb.93:                               ;   in Loop: Header=BB2_82 Depth=1
	s_and_b32 s81, 0xffff, s80
	s_cmpk_gt_u32 s81, 0x85
	s_cbranch_scc0 .LBB2_258
; %bb.94:                               ;   in Loop: Header=BB2_82 Depth=1
	s_cmpk_gt_u32 s81, 0x9b
	s_cbranch_scc0 .LBB2_179
; %bb.95:                               ;   in Loop: Header=BB2_82 Depth=1
	s_cmpk_gt_u32 s81, 0xa6
	s_cbranch_scc0 .LBB2_140
; %bb.96:                               ;   in Loop: Header=BB2_82 Depth=1
	s_cmpk_gt_u32 s81, 0xac
	s_cbranch_scc0 .LBB2_119
; %bb.97:                               ;   in Loop: Header=BB2_82 Depth=1
	s_cmpk_gt_u32 s81, 0xaf
	s_cbranch_scc0 .LBB2_109
; %bb.98:                               ;   in Loop: Header=BB2_82 Depth=1
	s_sext_i32_i16 s0, s80
	s_mov_b64 s[2:3], -1
	s_mov_b64 s[66:67], 0
	s_cmpk_lt_i32 s0, 0xb1
	s_mov_b64 s[0:1], 0
	s_cbranch_scc1 .LBB2_104
; %bb.99:                               ;   in Loop: Header=BB2_82 Depth=1
	s_cmpk_eq_i32 s81, 0xb1
	s_mov_b64 s[0:1], -1
	s_cbranch_scc0 .LBB2_101
; %bb.100:                              ;   in Loop: Header=BB2_82 Depth=1
	s_add_u32 s8, s36, 0x1000
	s_addc_u32 s9, s37, 0
	s_getpc_b64 s[0:1]
	s_add_u32 s0, s0, _Z45ncclDevFunc_SendRecv_RING_SIMPLE_Sum_i8_0_0_4v@rel32@lo+4
	s_addc_u32 s1, s1, _Z45ncclDevFunc_SendRecv_RING_SIMPLE_Sum_i8_0_0_4v@rel32@hi+12
	s_mov_b64 s[4:5], s[48:49]
	s_mov_b64 s[6:7], s[38:39]
	;; [unrolled: 1-line block ×3, first 2 shown]
	s_mov_b32 s12, s55
	s_mov_b32 s13, s54
	;; [unrolled: 1-line block ×3, first 2 shown]
	v_mov_b32_e32 v31, v40
	s_swappc_b64 s[30:31], s[0:1]
	s_mov_b64 s[0:1], 0
.LBB2_101:                              ;   in Loop: Header=BB2_82 Depth=1
.LBB2_102:                              ;   in Loop: Header=BB2_82 Depth=1
	s_andn2_b64 vcc, exec, s[0:1]
	s_cbranch_vccnz .LBB2_106
.LBB2_103:                              ;   in Loop: Header=BB2_82 Depth=1
	s_add_u32 s8, s36, 0x1000
	s_addc_u32 s9, s37, 0
	s_getpc_b64 s[0:1]
	s_add_u32 s0, s0, _Z50ncclDevFunc_AlltoAllPivot_RING_SIMPLE_Sum_i8_0_0_4v@rel32@lo+4
	s_addc_u32 s1, s1, _Z50ncclDevFunc_AlltoAllPivot_RING_SIMPLE_Sum_i8_0_0_4v@rel32@hi+12
	s_mov_b64 s[4:5], s[48:49]
	s_mov_b64 s[6:7], s[38:39]
	s_mov_b64 s[10:11], s[34:35]
	s_mov_b32 s12, s55
	s_mov_b32 s13, s54
	;; [unrolled: 1-line block ×3, first 2 shown]
	v_mov_b32_e32 v31, v40
	s_swappc_b64 s[30:31], s[0:1]
	s_cbranch_execz .LBB2_107
	s_branch .LBB2_108
.LBB2_104:                              ;   in Loop: Header=BB2_82 Depth=1
	s_and_b64 vcc, exec, s[2:3]
	s_cbranch_vccz .LBB2_102
; %bb.105:                              ;   in Loop: Header=BB2_82 Depth=1
	s_cmpk_lg_i32 s81, 0xb0
	s_mov_b64 s[66:67], -1
	s_cselect_b64 s[0:1], -1, 0
	s_andn2_b64 vcc, exec, s[0:1]
	s_cbranch_vccz .LBB2_103
.LBB2_106:                              ;   in Loop: Header=BB2_82 Depth=1
	s_andn2_b64 vcc, exec, s[66:67]
	s_cbranch_vccnz .LBB2_108
.LBB2_107:                              ;   in Loop: Header=BB2_82 Depth=1
	s_add_u32 s8, s36, 0x1000
	s_addc_u32 s9, s37, 0
	s_getpc_b64 s[0:1]
	s_add_u32 s0, s0, _Z54ncclDevFunc_AllReduce_RING_SIMPLE_SumPostDiv_u64_1_0_4v@rel32@lo+4
	s_addc_u32 s1, s1, _Z54ncclDevFunc_AllReduce_RING_SIMPLE_SumPostDiv_u64_1_0_4v@rel32@hi+12
	s_mov_b64 s[4:5], s[48:49]
	s_mov_b64 s[6:7], s[38:39]
	;; [unrolled: 1-line block ×3, first 2 shown]
	s_mov_b32 s12, s55
	s_mov_b32 s13, s54
	;; [unrolled: 1-line block ×3, first 2 shown]
	v_mov_b32_e32 v31, v40
	s_swappc_b64 s[30:31], s[0:1]
.LBB2_108:                              ;   in Loop: Header=BB2_82 Depth=1
	s_mov_b64 s[0:1], 0
.LBB2_109:                              ;   in Loop: Header=BB2_82 Depth=1
	s_and_b64 vcc, exec, s[0:1]
	s_cbranch_vccz .LBB2_118
; %bb.110:                              ;   in Loop: Header=BB2_82 Depth=1
	s_sext_i32_i16 s0, s80
	s_cmpk_lt_i32 s0, 0xae
	s_mov_b64 s[0:1], -1
	s_cbranch_scc1 .LBB2_116
; %bb.111:                              ;   in Loop: Header=BB2_82 Depth=1
	s_cmpk_lg_i32 s81, 0xae
	s_cbranch_scc0 .LBB2_113
; %bb.112:                              ;   in Loop: Header=BB2_82 Depth=1
	s_add_u32 s8, s36, 0x1000
	s_addc_u32 s9, s37, 0
	s_getpc_b64 s[0:1]
	s_add_u32 s0, s0, _Z54ncclDevFunc_AllReduce_RING_SIMPLE_SumPostDiv_u64_0_0_4v@rel32@lo+4
	s_addc_u32 s1, s1, _Z54ncclDevFunc_AllReduce_RING_SIMPLE_SumPostDiv_u64_0_0_4v@rel32@hi+12
	s_mov_b64 s[4:5], s[48:49]
	s_mov_b64 s[6:7], s[38:39]
	;; [unrolled: 1-line block ×3, first 2 shown]
	s_mov_b32 s12, s55
	s_mov_b32 s13, s54
	;; [unrolled: 1-line block ×3, first 2 shown]
	v_mov_b32_e32 v31, v40
	s_swappc_b64 s[30:31], s[0:1]
	s_mov_b64 s[0:1], 0
.LBB2_113:                              ;   in Loop: Header=BB2_82 Depth=1
	s_andn2_b64 vcc, exec, s[0:1]
	s_cbranch_vccnz .LBB2_115
; %bb.114:                              ;   in Loop: Header=BB2_82 Depth=1
	s_add_u32 s8, s36, 0x1000
	s_addc_u32 s9, s37, 0
	s_getpc_b64 s[0:1]
	s_add_u32 s0, s0, _Z54ncclDevFunc_AllReduce_RING_SIMPLE_SumPostDiv_u32_1_0_4v@rel32@lo+4
	s_addc_u32 s1, s1, _Z54ncclDevFunc_AllReduce_RING_SIMPLE_SumPostDiv_u32_1_0_4v@rel32@hi+12
	s_mov_b64 s[4:5], s[48:49]
	s_mov_b64 s[6:7], s[38:39]
	;; [unrolled: 1-line block ×3, first 2 shown]
	s_mov_b32 s12, s55
	s_mov_b32 s13, s54
	;; [unrolled: 1-line block ×3, first 2 shown]
	v_mov_b32_e32 v31, v40
	s_swappc_b64 s[30:31], s[0:1]
.LBB2_115:                              ;   in Loop: Header=BB2_82 Depth=1
	s_mov_b64 s[0:1], 0
.LBB2_116:                              ;   in Loop: Header=BB2_82 Depth=1
	s_andn2_b64 vcc, exec, s[0:1]
	s_cbranch_vccnz .LBB2_118
; %bb.117:                              ;   in Loop: Header=BB2_82 Depth=1
	s_add_u32 s8, s36, 0x1000
	s_addc_u32 s9, s37, 0
	s_getpc_b64 s[0:1]
	s_add_u32 s0, s0, _Z54ncclDevFunc_AllReduce_RING_SIMPLE_SumPostDiv_u32_0_0_4v@rel32@lo+4
	s_addc_u32 s1, s1, _Z54ncclDevFunc_AllReduce_RING_SIMPLE_SumPostDiv_u32_0_0_4v@rel32@hi+12
	s_mov_b64 s[4:5], s[48:49]
	s_mov_b64 s[6:7], s[38:39]
	s_mov_b64 s[10:11], s[34:35]
	s_mov_b32 s12, s55
	s_mov_b32 s13, s54
	;; [unrolled: 1-line block ×3, first 2 shown]
	v_mov_b32_e32 v31, v40
	s_swappc_b64 s[30:31], s[0:1]
.LBB2_118:                              ;   in Loop: Header=BB2_82 Depth=1
	s_mov_b64 s[0:1], 0
.LBB2_119:                              ;   in Loop: Header=BB2_82 Depth=1
	s_andn2_b64 vcc, exec, s[0:1]
	s_cbranch_vccnz .LBB2_139
; %bb.120:                              ;   in Loop: Header=BB2_82 Depth=1
	s_cmpk_gt_u32 s81, 0xa9
	s_mov_b64 s[0:1], -1
	s_cbranch_scc0 .LBB2_130
; %bb.121:                              ;   in Loop: Header=BB2_82 Depth=1
	s_sext_i32_i16 s0, s80
	s_cmpk_lt_i32 s0, 0xab
	s_mov_b64 s[0:1], -1
	s_cbranch_scc1 .LBB2_127
; %bb.122:                              ;   in Loop: Header=BB2_82 Depth=1
	s_cmpk_lg_i32 s81, 0xab
	s_cbranch_scc0 .LBB2_124
; %bb.123:                              ;   in Loop: Header=BB2_82 Depth=1
	s_add_u32 s8, s36, 0x1000
	s_addc_u32 s9, s37, 0
	s_getpc_b64 s[0:1]
	s_add_u32 s0, s0, _Z53ncclDevFunc_AllReduce_RING_SIMPLE_SumPostDiv_u8_1_0_4v@rel32@lo+4
	s_addc_u32 s1, s1, _Z53ncclDevFunc_AllReduce_RING_SIMPLE_SumPostDiv_u8_1_0_4v@rel32@hi+12
	s_mov_b64 s[4:5], s[48:49]
	s_mov_b64 s[6:7], s[38:39]
	s_mov_b64 s[10:11], s[34:35]
	s_mov_b32 s12, s55
	s_mov_b32 s13, s54
	s_mov_b32 s14, s33
	v_mov_b32_e32 v31, v40
	s_swappc_b64 s[30:31], s[0:1]
	s_mov_b64 s[0:1], 0
.LBB2_124:                              ;   in Loop: Header=BB2_82 Depth=1
	s_andn2_b64 vcc, exec, s[0:1]
	s_cbranch_vccnz .LBB2_126
; %bb.125:                              ;   in Loop: Header=BB2_82 Depth=1
	s_add_u32 s8, s36, 0x1000
	s_addc_u32 s9, s37, 0
	s_getpc_b64 s[0:1]
	s_add_u32 s0, s0, _Z53ncclDevFunc_AllReduce_RING_SIMPLE_SumPostDiv_u8_0_0_4v@rel32@lo+4
	s_addc_u32 s1, s1, _Z53ncclDevFunc_AllReduce_RING_SIMPLE_SumPostDiv_u8_0_0_4v@rel32@hi+12
	s_mov_b64 s[4:5], s[48:49]
	s_mov_b64 s[6:7], s[38:39]
	s_mov_b64 s[10:11], s[34:35]
	s_mov_b32 s12, s55
	s_mov_b32 s13, s54
	;; [unrolled: 1-line block ×3, first 2 shown]
	v_mov_b32_e32 v31, v40
	s_swappc_b64 s[30:31], s[0:1]
.LBB2_126:                              ;   in Loop: Header=BB2_82 Depth=1
	s_mov_b64 s[0:1], 0
.LBB2_127:                              ;   in Loop: Header=BB2_82 Depth=1
	s_andn2_b64 vcc, exec, s[0:1]
	s_cbranch_vccnz .LBB2_129
; %bb.128:                              ;   in Loop: Header=BB2_82 Depth=1
	s_add_u32 s8, s36, 0x1000
	s_addc_u32 s9, s37, 0
	s_getpc_b64 s[0:1]
	s_add_u32 s0, s0, _Z56ncclDevFunc_AllReduce_RING_SIMPLE_PreMulSum_f8e5m2_1_0_4v@rel32@lo+4
	s_addc_u32 s1, s1, _Z56ncclDevFunc_AllReduce_RING_SIMPLE_PreMulSum_f8e5m2_1_0_4v@rel32@hi+12
	s_mov_b64 s[4:5], s[48:49]
	s_mov_b64 s[6:7], s[38:39]
	s_mov_b64 s[10:11], s[34:35]
	s_mov_b32 s12, s55
	s_mov_b32 s13, s54
	;; [unrolled: 1-line block ×3, first 2 shown]
	v_mov_b32_e32 v31, v40
	s_swappc_b64 s[30:31], s[0:1]
.LBB2_129:                              ;   in Loop: Header=BB2_82 Depth=1
	s_mov_b64 s[0:1], 0
.LBB2_130:                              ;   in Loop: Header=BB2_82 Depth=1
	s_and_b64 vcc, exec, s[0:1]
	s_cbranch_vccz .LBB2_139
; %bb.131:                              ;   in Loop: Header=BB2_82 Depth=1
	s_sext_i32_i16 s0, s80
	s_cmpk_lt_i32 s0, 0xa8
	s_mov_b64 s[0:1], -1
	s_cbranch_scc1 .LBB2_137
; %bb.132:                              ;   in Loop: Header=BB2_82 Depth=1
	s_cmpk_lg_i32 s81, 0xa8
	s_cbranch_scc0 .LBB2_134
; %bb.133:                              ;   in Loop: Header=BB2_82 Depth=1
	s_add_u32 s8, s36, 0x1000
	s_addc_u32 s9, s37, 0
	s_getpc_b64 s[0:1]
	s_add_u32 s0, s0, _Z56ncclDevFunc_AllReduce_RING_SIMPLE_PreMulSum_f8e5m2_0_0_4v@rel32@lo+4
	s_addc_u32 s1, s1, _Z56ncclDevFunc_AllReduce_RING_SIMPLE_PreMulSum_f8e5m2_0_0_4v@rel32@hi+12
	s_mov_b64 s[4:5], s[48:49]
	s_mov_b64 s[6:7], s[38:39]
	;; [unrolled: 1-line block ×3, first 2 shown]
	s_mov_b32 s12, s55
	s_mov_b32 s13, s54
	s_mov_b32 s14, s33
	v_mov_b32_e32 v31, v40
	s_swappc_b64 s[30:31], s[0:1]
	s_mov_b64 s[0:1], 0
.LBB2_134:                              ;   in Loop: Header=BB2_82 Depth=1
	s_andn2_b64 vcc, exec, s[0:1]
	s_cbranch_vccnz .LBB2_136
; %bb.135:                              ;   in Loop: Header=BB2_82 Depth=1
	s_add_u32 s8, s36, 0x1000
	s_addc_u32 s9, s37, 0
	s_getpc_b64 s[0:1]
	s_add_u32 s0, s0, _Z56ncclDevFunc_AllReduce_RING_SIMPLE_PreMulSum_f8e4m3_1_0_4v@rel32@lo+4
	s_addc_u32 s1, s1, _Z56ncclDevFunc_AllReduce_RING_SIMPLE_PreMulSum_f8e4m3_1_0_4v@rel32@hi+12
	s_mov_b64 s[4:5], s[48:49]
	s_mov_b64 s[6:7], s[38:39]
	;; [unrolled: 1-line block ×3, first 2 shown]
	s_mov_b32 s12, s55
	s_mov_b32 s13, s54
	;; [unrolled: 1-line block ×3, first 2 shown]
	v_mov_b32_e32 v31, v40
	s_swappc_b64 s[30:31], s[0:1]
.LBB2_136:                              ;   in Loop: Header=BB2_82 Depth=1
	s_mov_b64 s[0:1], 0
.LBB2_137:                              ;   in Loop: Header=BB2_82 Depth=1
	s_andn2_b64 vcc, exec, s[0:1]
	s_cbranch_vccnz .LBB2_139
; %bb.138:                              ;   in Loop: Header=BB2_82 Depth=1
	s_add_u32 s8, s36, 0x1000
	s_addc_u32 s9, s37, 0
	s_getpc_b64 s[0:1]
	s_add_u32 s0, s0, _Z56ncclDevFunc_AllReduce_RING_SIMPLE_PreMulSum_f8e4m3_0_0_4v@rel32@lo+4
	s_addc_u32 s1, s1, _Z56ncclDevFunc_AllReduce_RING_SIMPLE_PreMulSum_f8e4m3_0_0_4v@rel32@hi+12
	s_mov_b64 s[4:5], s[48:49]
	s_mov_b64 s[6:7], s[38:39]
	;; [unrolled: 1-line block ×3, first 2 shown]
	s_mov_b32 s12, s55
	s_mov_b32 s13, s54
	;; [unrolled: 1-line block ×3, first 2 shown]
	v_mov_b32_e32 v31, v40
	s_swappc_b64 s[30:31], s[0:1]
.LBB2_139:                              ;   in Loop: Header=BB2_82 Depth=1
	s_mov_b64 s[0:1], 0
.LBB2_140:                              ;   in Loop: Header=BB2_82 Depth=1
	s_andn2_b64 vcc, exec, s[0:1]
	s_cbranch_vccnz .LBB2_178
; %bb.141:                              ;   in Loop: Header=BB2_82 Depth=1
	s_cmpk_gt_u32 s81, 0xa0
	s_mov_b64 s[0:1], -1
	s_cbranch_scc0 .LBB2_162
; %bb.142:                              ;   in Loop: Header=BB2_82 Depth=1
	s_cmpk_gt_u32 s81, 0xa3
	s_cbranch_scc0 .LBB2_152
; %bb.143:                              ;   in Loop: Header=BB2_82 Depth=1
	s_sext_i32_i16 s0, s80
	s_cmpk_lt_i32 s0, 0xa5
	s_mov_b64 s[0:1], -1
	s_cbranch_scc1 .LBB2_149
; %bb.144:                              ;   in Loop: Header=BB2_82 Depth=1
	s_cmpk_lg_i32 s81, 0xa5
	s_cbranch_scc0 .LBB2_146
; %bb.145:                              ;   in Loop: Header=BB2_82 Depth=1
	s_add_u32 s8, s36, 0x1000
	s_addc_u32 s9, s37, 0
	s_getpc_b64 s[0:1]
	s_add_u32 s0, s0, _Z54ncclDevFunc_AllReduce_RING_SIMPLE_PreMulSum_bf16_1_1_4v@rel32@lo+4
	s_addc_u32 s1, s1, _Z54ncclDevFunc_AllReduce_RING_SIMPLE_PreMulSum_bf16_1_1_4v@rel32@hi+12
	s_mov_b64 s[4:5], s[48:49]
	s_mov_b64 s[6:7], s[38:39]
	;; [unrolled: 1-line block ×3, first 2 shown]
	s_mov_b32 s12, s55
	s_mov_b32 s13, s54
	;; [unrolled: 1-line block ×3, first 2 shown]
	v_mov_b32_e32 v31, v40
	s_swappc_b64 s[30:31], s[0:1]
	s_mov_b64 s[0:1], 0
.LBB2_146:                              ;   in Loop: Header=BB2_82 Depth=1
	s_andn2_b64 vcc, exec, s[0:1]
	s_cbranch_vccnz .LBB2_148
; %bb.147:                              ;   in Loop: Header=BB2_82 Depth=1
	s_add_u32 s8, s36, 0x1000
	s_addc_u32 s9, s37, 0
	s_getpc_b64 s[0:1]
	s_add_u32 s0, s0, _Z54ncclDevFunc_AllReduce_RING_SIMPLE_PreMulSum_bf16_1_0_4v@rel32@lo+4
	s_addc_u32 s1, s1, _Z54ncclDevFunc_AllReduce_RING_SIMPLE_PreMulSum_bf16_1_0_4v@rel32@hi+12
	s_mov_b64 s[4:5], s[48:49]
	s_mov_b64 s[6:7], s[38:39]
	;; [unrolled: 1-line block ×3, first 2 shown]
	s_mov_b32 s12, s55
	s_mov_b32 s13, s54
	;; [unrolled: 1-line block ×3, first 2 shown]
	v_mov_b32_e32 v31, v40
	s_swappc_b64 s[30:31], s[0:1]
.LBB2_148:                              ;   in Loop: Header=BB2_82 Depth=1
	s_mov_b64 s[0:1], 0
.LBB2_149:                              ;   in Loop: Header=BB2_82 Depth=1
	s_andn2_b64 vcc, exec, s[0:1]
	s_cbranch_vccnz .LBB2_151
; %bb.150:                              ;   in Loop: Header=BB2_82 Depth=1
	s_add_u32 s8, s36, 0x1000
	s_addc_u32 s9, s37, 0
	s_getpc_b64 s[0:1]
	s_add_u32 s0, s0, _Z54ncclDevFunc_AllReduce_RING_SIMPLE_PreMulSum_bf16_0_1_4v@rel32@lo+4
	s_addc_u32 s1, s1, _Z54ncclDevFunc_AllReduce_RING_SIMPLE_PreMulSum_bf16_0_1_4v@rel32@hi+12
	s_mov_b64 s[4:5], s[48:49]
	s_mov_b64 s[6:7], s[38:39]
	;; [unrolled: 1-line block ×3, first 2 shown]
	s_mov_b32 s12, s55
	s_mov_b32 s13, s54
	;; [unrolled: 1-line block ×3, first 2 shown]
	v_mov_b32_e32 v31, v40
	s_swappc_b64 s[30:31], s[0:1]
.LBB2_151:                              ;   in Loop: Header=BB2_82 Depth=1
	s_mov_b64 s[0:1], 0
.LBB2_152:                              ;   in Loop: Header=BB2_82 Depth=1
	s_and_b64 vcc, exec, s[0:1]
	s_cbranch_vccz .LBB2_161
; %bb.153:                              ;   in Loop: Header=BB2_82 Depth=1
	s_sext_i32_i16 s0, s80
	s_cmpk_lt_i32 s0, 0xa2
	s_mov_b64 s[0:1], -1
	s_cbranch_scc1 .LBB2_159
; %bb.154:                              ;   in Loop: Header=BB2_82 Depth=1
	s_cmpk_lg_i32 s81, 0xa2
	s_cbranch_scc0 .LBB2_156
; %bb.155:                              ;   in Loop: Header=BB2_82 Depth=1
	s_add_u32 s8, s36, 0x1000
	s_addc_u32 s9, s37, 0
	s_getpc_b64 s[0:1]
	s_add_u32 s0, s0, _Z54ncclDevFunc_AllReduce_RING_SIMPLE_PreMulSum_bf16_0_0_4v@rel32@lo+4
	s_addc_u32 s1, s1, _Z54ncclDevFunc_AllReduce_RING_SIMPLE_PreMulSum_bf16_0_0_4v@rel32@hi+12
	s_mov_b64 s[4:5], s[48:49]
	s_mov_b64 s[6:7], s[38:39]
	s_mov_b64 s[10:11], s[34:35]
	s_mov_b32 s12, s55
	s_mov_b32 s13, s54
	;; [unrolled: 1-line block ×3, first 2 shown]
	v_mov_b32_e32 v31, v40
	s_swappc_b64 s[30:31], s[0:1]
	s_mov_b64 s[0:1], 0
.LBB2_156:                              ;   in Loop: Header=BB2_82 Depth=1
	s_andn2_b64 vcc, exec, s[0:1]
	s_cbranch_vccnz .LBB2_158
; %bb.157:                              ;   in Loop: Header=BB2_82 Depth=1
	s_add_u32 s8, s36, 0x1000
	s_addc_u32 s9, s37, 0
	s_getpc_b64 s[0:1]
	s_add_u32 s0, s0, _Z53ncclDevFunc_AllReduce_RING_SIMPLE_PreMulSum_f64_1_0_4v@rel32@lo+4
	s_addc_u32 s1, s1, _Z53ncclDevFunc_AllReduce_RING_SIMPLE_PreMulSum_f64_1_0_4v@rel32@hi+12
	s_mov_b64 s[4:5], s[48:49]
	s_mov_b64 s[6:7], s[38:39]
	s_mov_b64 s[10:11], s[34:35]
	s_mov_b32 s12, s55
	s_mov_b32 s13, s54
	;; [unrolled: 1-line block ×3, first 2 shown]
	v_mov_b32_e32 v31, v40
	s_swappc_b64 s[30:31], s[0:1]
.LBB2_158:                              ;   in Loop: Header=BB2_82 Depth=1
	s_mov_b64 s[0:1], 0
.LBB2_159:                              ;   in Loop: Header=BB2_82 Depth=1
	s_andn2_b64 vcc, exec, s[0:1]
	s_cbranch_vccnz .LBB2_161
; %bb.160:                              ;   in Loop: Header=BB2_82 Depth=1
	s_add_u32 s8, s36, 0x1000
	s_addc_u32 s9, s37, 0
	s_getpc_b64 s[0:1]
	s_add_u32 s0, s0, _Z53ncclDevFunc_AllReduce_RING_SIMPLE_PreMulSum_f64_0_0_4v@rel32@lo+4
	s_addc_u32 s1, s1, _Z53ncclDevFunc_AllReduce_RING_SIMPLE_PreMulSum_f64_0_0_4v@rel32@hi+12
	s_mov_b64 s[4:5], s[48:49]
	s_mov_b64 s[6:7], s[38:39]
	;; [unrolled: 1-line block ×3, first 2 shown]
	s_mov_b32 s12, s55
	s_mov_b32 s13, s54
	;; [unrolled: 1-line block ×3, first 2 shown]
	v_mov_b32_e32 v31, v40
	s_swappc_b64 s[30:31], s[0:1]
.LBB2_161:                              ;   in Loop: Header=BB2_82 Depth=1
	s_mov_b64 s[0:1], 0
.LBB2_162:                              ;   in Loop: Header=BB2_82 Depth=1
	s_andn2_b64 vcc, exec, s[0:1]
	s_cbranch_vccnz .LBB2_178
; %bb.163:                              ;   in Loop: Header=BB2_82 Depth=1
	s_cmpk_gt_u32 s81, 0x9d
	s_mov_b64 s[0:1], -1
	s_cbranch_scc0 .LBB2_173
; %bb.164:                              ;   in Loop: Header=BB2_82 Depth=1
	s_sext_i32_i16 s0, s80
	s_cmpk_lt_i32 s0, 0x9f
	s_mov_b64 s[0:1], -1
	s_cbranch_scc1 .LBB2_170
; %bb.165:                              ;   in Loop: Header=BB2_82 Depth=1
	s_cmpk_lg_i32 s81, 0x9f
	s_cbranch_scc0 .LBB2_167
; %bb.166:                              ;   in Loop: Header=BB2_82 Depth=1
	s_add_u32 s8, s36, 0x1000
	s_addc_u32 s9, s37, 0
	s_getpc_b64 s[0:1]
	s_add_u32 s0, s0, _Z53ncclDevFunc_AllReduce_RING_SIMPLE_PreMulSum_f32_1_0_4v@rel32@lo+4
	s_addc_u32 s1, s1, _Z53ncclDevFunc_AllReduce_RING_SIMPLE_PreMulSum_f32_1_0_4v@rel32@hi+12
	s_mov_b64 s[4:5], s[48:49]
	s_mov_b64 s[6:7], s[38:39]
	;; [unrolled: 1-line block ×3, first 2 shown]
	s_mov_b32 s12, s55
	s_mov_b32 s13, s54
	s_mov_b32 s14, s33
	v_mov_b32_e32 v31, v40
	s_swappc_b64 s[30:31], s[0:1]
	s_mov_b64 s[0:1], 0
.LBB2_167:                              ;   in Loop: Header=BB2_82 Depth=1
	s_andn2_b64 vcc, exec, s[0:1]
	s_cbranch_vccnz .LBB2_169
; %bb.168:                              ;   in Loop: Header=BB2_82 Depth=1
	s_add_u32 s8, s36, 0x1000
	s_addc_u32 s9, s37, 0
	s_getpc_b64 s[0:1]
	s_add_u32 s0, s0, _Z53ncclDevFunc_AllReduce_RING_SIMPLE_PreMulSum_f32_0_0_4v@rel32@lo+4
	s_addc_u32 s1, s1, _Z53ncclDevFunc_AllReduce_RING_SIMPLE_PreMulSum_f32_0_0_4v@rel32@hi+12
	s_mov_b64 s[4:5], s[48:49]
	s_mov_b64 s[6:7], s[38:39]
	;; [unrolled: 1-line block ×3, first 2 shown]
	s_mov_b32 s12, s55
	s_mov_b32 s13, s54
	;; [unrolled: 1-line block ×3, first 2 shown]
	v_mov_b32_e32 v31, v40
	s_swappc_b64 s[30:31], s[0:1]
.LBB2_169:                              ;   in Loop: Header=BB2_82 Depth=1
	s_mov_b64 s[0:1], 0
.LBB2_170:                              ;   in Loop: Header=BB2_82 Depth=1
	s_andn2_b64 vcc, exec, s[0:1]
	s_cbranch_vccnz .LBB2_172
; %bb.171:                              ;   in Loop: Header=BB2_82 Depth=1
	s_add_u32 s8, s36, 0x1000
	s_addc_u32 s9, s37, 0
	s_getpc_b64 s[0:1]
	s_add_u32 s0, s0, _Z53ncclDevFunc_AllReduce_RING_SIMPLE_PreMulSum_f16_1_0_4v@rel32@lo+4
	s_addc_u32 s1, s1, _Z53ncclDevFunc_AllReduce_RING_SIMPLE_PreMulSum_f16_1_0_4v@rel32@hi+12
	s_mov_b64 s[4:5], s[48:49]
	s_mov_b64 s[6:7], s[38:39]
	;; [unrolled: 1-line block ×3, first 2 shown]
	s_mov_b32 s12, s55
	s_mov_b32 s13, s54
	;; [unrolled: 1-line block ×3, first 2 shown]
	v_mov_b32_e32 v31, v40
	s_swappc_b64 s[30:31], s[0:1]
.LBB2_172:                              ;   in Loop: Header=BB2_82 Depth=1
	s_mov_b64 s[0:1], 0
.LBB2_173:                              ;   in Loop: Header=BB2_82 Depth=1
	s_and_b64 vcc, exec, s[0:1]
	s_cbranch_vccz .LBB2_178
; %bb.174:                              ;   in Loop: Header=BB2_82 Depth=1
	s_cmpk_eq_i32 s81, 0x9d
	s_mov_b64 s[0:1], -1
	s_cbranch_scc1 .LBB2_176
; %bb.175:                              ;   in Loop: Header=BB2_82 Depth=1
	s_add_u32 s8, s36, 0x1000
	s_addc_u32 s9, s37, 0
	s_getpc_b64 s[0:1]
	s_add_u32 s0, s0, _Z53ncclDevFunc_AllReduce_RING_SIMPLE_PreMulSum_u64_1_0_4v@rel32@lo+4
	s_addc_u32 s1, s1, _Z53ncclDevFunc_AllReduce_RING_SIMPLE_PreMulSum_u64_1_0_4v@rel32@hi+12
	s_mov_b64 s[4:5], s[48:49]
	s_mov_b64 s[6:7], s[38:39]
	;; [unrolled: 1-line block ×3, first 2 shown]
	s_mov_b32 s12, s55
	s_mov_b32 s13, s54
	;; [unrolled: 1-line block ×3, first 2 shown]
	v_mov_b32_e32 v31, v40
	s_swappc_b64 s[30:31], s[0:1]
	s_mov_b64 s[0:1], 0
.LBB2_176:                              ;   in Loop: Header=BB2_82 Depth=1
	s_andn2_b64 vcc, exec, s[0:1]
	s_cbranch_vccnz .LBB2_178
; %bb.177:                              ;   in Loop: Header=BB2_82 Depth=1
	s_add_u32 s8, s36, 0x1000
	s_addc_u32 s9, s37, 0
	s_getpc_b64 s[0:1]
	s_add_u32 s0, s0, _Z53ncclDevFunc_AllReduce_RING_SIMPLE_PreMulSum_f16_0_0_4v@rel32@lo+4
	s_addc_u32 s1, s1, _Z53ncclDevFunc_AllReduce_RING_SIMPLE_PreMulSum_f16_0_0_4v@rel32@hi+12
	s_mov_b64 s[4:5], s[48:49]
	s_mov_b64 s[6:7], s[38:39]
	;; [unrolled: 1-line block ×3, first 2 shown]
	s_mov_b32 s12, s55
	s_mov_b32 s13, s54
	;; [unrolled: 1-line block ×3, first 2 shown]
	v_mov_b32_e32 v31, v40
	s_swappc_b64 s[30:31], s[0:1]
.LBB2_178:                              ;   in Loop: Header=BB2_82 Depth=1
	s_mov_b64 s[0:1], 0
.LBB2_179:                              ;   in Loop: Header=BB2_82 Depth=1
	s_andn2_b64 vcc, exec, s[0:1]
	s_cbranch_vccnz .LBB2_257
; %bb.180:                              ;   in Loop: Header=BB2_82 Depth=1
	s_cmpk_gt_u32 s81, 0x90
	s_mov_b64 s[0:1], -1
	s_cbranch_scc0 .LBB2_219
; %bb.181:                              ;   in Loop: Header=BB2_82 Depth=1
	s_cmpk_gt_u32 s81, 0x95
	s_cbranch_scc0 .LBB2_202
; %bb.182:                              ;   in Loop: Header=BB2_82 Depth=1
	s_cmpk_gt_u32 s81, 0x98
	s_cbranch_scc0 .LBB2_192
; %bb.183:                              ;   in Loop: Header=BB2_82 Depth=1
	s_sext_i32_i16 s0, s80
	s_cmpk_lt_i32 s0, 0x9a
	s_mov_b64 s[0:1], -1
	s_cbranch_scc1 .LBB2_189
; %bb.184:                              ;   in Loop: Header=BB2_82 Depth=1
	s_cmpk_lg_i32 s81, 0x9a
	s_cbranch_scc0 .LBB2_186
; %bb.185:                              ;   in Loop: Header=BB2_82 Depth=1
	s_add_u32 s8, s36, 0x1000
	s_addc_u32 s9, s37, 0
	s_getpc_b64 s[0:1]
	s_add_u32 s0, s0, _Z53ncclDevFunc_AllReduce_RING_SIMPLE_PreMulSum_u64_0_0_4v@rel32@lo+4
	s_addc_u32 s1, s1, _Z53ncclDevFunc_AllReduce_RING_SIMPLE_PreMulSum_u64_0_0_4v@rel32@hi+12
	s_mov_b64 s[4:5], s[48:49]
	s_mov_b64 s[6:7], s[38:39]
	;; [unrolled: 1-line block ×3, first 2 shown]
	s_mov_b32 s12, s55
	s_mov_b32 s13, s54
	;; [unrolled: 1-line block ×3, first 2 shown]
	v_mov_b32_e32 v31, v40
	s_swappc_b64 s[30:31], s[0:1]
	s_mov_b64 s[0:1], 0
.LBB2_186:                              ;   in Loop: Header=BB2_82 Depth=1
	s_andn2_b64 vcc, exec, s[0:1]
	s_cbranch_vccnz .LBB2_188
; %bb.187:                              ;   in Loop: Header=BB2_82 Depth=1
	s_add_u32 s8, s36, 0x1000
	s_addc_u32 s9, s37, 0
	s_getpc_b64 s[0:1]
	s_add_u32 s0, s0, _Z53ncclDevFunc_AllReduce_RING_SIMPLE_PreMulSum_u32_1_0_4v@rel32@lo+4
	s_addc_u32 s1, s1, _Z53ncclDevFunc_AllReduce_RING_SIMPLE_PreMulSum_u32_1_0_4v@rel32@hi+12
	s_mov_b64 s[4:5], s[48:49]
	s_mov_b64 s[6:7], s[38:39]
	;; [unrolled: 1-line block ×3, first 2 shown]
	s_mov_b32 s12, s55
	s_mov_b32 s13, s54
	;; [unrolled: 1-line block ×3, first 2 shown]
	v_mov_b32_e32 v31, v40
	s_swappc_b64 s[30:31], s[0:1]
.LBB2_188:                              ;   in Loop: Header=BB2_82 Depth=1
	s_mov_b64 s[0:1], 0
.LBB2_189:                              ;   in Loop: Header=BB2_82 Depth=1
	s_andn2_b64 vcc, exec, s[0:1]
	s_cbranch_vccnz .LBB2_191
; %bb.190:                              ;   in Loop: Header=BB2_82 Depth=1
	s_add_u32 s8, s36, 0x1000
	s_addc_u32 s9, s37, 0
	s_getpc_b64 s[0:1]
	s_add_u32 s0, s0, _Z53ncclDevFunc_AllReduce_RING_SIMPLE_PreMulSum_u32_0_0_4v@rel32@lo+4
	s_addc_u32 s1, s1, _Z53ncclDevFunc_AllReduce_RING_SIMPLE_PreMulSum_u32_0_0_4v@rel32@hi+12
	s_mov_b64 s[4:5], s[48:49]
	s_mov_b64 s[6:7], s[38:39]
	;; [unrolled: 1-line block ×3, first 2 shown]
	s_mov_b32 s12, s55
	s_mov_b32 s13, s54
	;; [unrolled: 1-line block ×3, first 2 shown]
	v_mov_b32_e32 v31, v40
	s_swappc_b64 s[30:31], s[0:1]
.LBB2_191:                              ;   in Loop: Header=BB2_82 Depth=1
	s_mov_b64 s[0:1], 0
.LBB2_192:                              ;   in Loop: Header=BB2_82 Depth=1
	s_and_b64 vcc, exec, s[0:1]
	s_cbranch_vccz .LBB2_201
; %bb.193:                              ;   in Loop: Header=BB2_82 Depth=1
	s_sext_i32_i16 s0, s80
	s_cmpk_lt_i32 s0, 0x97
	s_mov_b64 s[0:1], -1
	s_cbranch_scc1 .LBB2_199
; %bb.194:                              ;   in Loop: Header=BB2_82 Depth=1
	s_cmpk_lg_i32 s81, 0x97
	s_cbranch_scc0 .LBB2_196
; %bb.195:                              ;   in Loop: Header=BB2_82 Depth=1
	s_add_u32 s8, s36, 0x1000
	s_addc_u32 s9, s37, 0
	s_getpc_b64 s[0:1]
	s_add_u32 s0, s0, _Z52ncclDevFunc_AllReduce_RING_SIMPLE_PreMulSum_u8_1_0_4v@rel32@lo+4
	s_addc_u32 s1, s1, _Z52ncclDevFunc_AllReduce_RING_SIMPLE_PreMulSum_u8_1_0_4v@rel32@hi+12
	s_mov_b64 s[4:5], s[48:49]
	s_mov_b64 s[6:7], s[38:39]
	;; [unrolled: 1-line block ×3, first 2 shown]
	s_mov_b32 s12, s55
	s_mov_b32 s13, s54
	;; [unrolled: 1-line block ×3, first 2 shown]
	v_mov_b32_e32 v31, v40
	s_swappc_b64 s[30:31], s[0:1]
	s_mov_b64 s[0:1], 0
.LBB2_196:                              ;   in Loop: Header=BB2_82 Depth=1
	s_andn2_b64 vcc, exec, s[0:1]
	s_cbranch_vccnz .LBB2_198
; %bb.197:                              ;   in Loop: Header=BB2_82 Depth=1
	s_add_u32 s8, s36, 0x1000
	s_addc_u32 s9, s37, 0
	s_getpc_b64 s[0:1]
	s_add_u32 s0, s0, _Z52ncclDevFunc_AllReduce_RING_SIMPLE_PreMulSum_u8_0_0_4v@rel32@lo+4
	s_addc_u32 s1, s1, _Z52ncclDevFunc_AllReduce_RING_SIMPLE_PreMulSum_u8_0_0_4v@rel32@hi+12
	s_mov_b64 s[4:5], s[48:49]
	s_mov_b64 s[6:7], s[38:39]
	s_mov_b64 s[10:11], s[34:35]
	s_mov_b32 s12, s55
	s_mov_b32 s13, s54
	s_mov_b32 s14, s33
	v_mov_b32_e32 v31, v40
	s_swappc_b64 s[30:31], s[0:1]
.LBB2_198:                              ;   in Loop: Header=BB2_82 Depth=1
	s_mov_b64 s[0:1], 0
.LBB2_199:                              ;   in Loop: Header=BB2_82 Depth=1
	s_andn2_b64 vcc, exec, s[0:1]
	s_cbranch_vccnz .LBB2_201
; %bb.200:                              ;   in Loop: Header=BB2_82 Depth=1
	s_add_u32 s8, s36, 0x1000
	s_addc_u32 s9, s37, 0
	s_getpc_b64 s[0:1]
	s_add_u32 s0, s0, _Z53ncclDevFunc_AllReduce_RING_SIMPLE_MinMax_f8e5m2_1_0_4v@rel32@lo+4
	s_addc_u32 s1, s1, _Z53ncclDevFunc_AllReduce_RING_SIMPLE_MinMax_f8e5m2_1_0_4v@rel32@hi+12
	s_mov_b64 s[4:5], s[48:49]
	s_mov_b64 s[6:7], s[38:39]
	;; [unrolled: 1-line block ×3, first 2 shown]
	s_mov_b32 s12, s55
	s_mov_b32 s13, s54
	;; [unrolled: 1-line block ×3, first 2 shown]
	v_mov_b32_e32 v31, v40
	s_swappc_b64 s[30:31], s[0:1]
.LBB2_201:                              ;   in Loop: Header=BB2_82 Depth=1
	s_mov_b64 s[0:1], 0
.LBB2_202:                              ;   in Loop: Header=BB2_82 Depth=1
	s_andn2_b64 vcc, exec, s[0:1]
	s_cbranch_vccnz .LBB2_218
; %bb.203:                              ;   in Loop: Header=BB2_82 Depth=1
	s_cmpk_gt_u32 s81, 0x92
	s_mov_b64 s[0:1], -1
	s_cbranch_scc0 .LBB2_213
; %bb.204:                              ;   in Loop: Header=BB2_82 Depth=1
	s_sext_i32_i16 s0, s80
	s_cmpk_lt_i32 s0, 0x94
	s_mov_b64 s[0:1], -1
	s_cbranch_scc1 .LBB2_210
; %bb.205:                              ;   in Loop: Header=BB2_82 Depth=1
	s_cmpk_lg_i32 s81, 0x94
	s_cbranch_scc0 .LBB2_207
; %bb.206:                              ;   in Loop: Header=BB2_82 Depth=1
	s_add_u32 s8, s36, 0x1000
	s_addc_u32 s9, s37, 0
	s_getpc_b64 s[0:1]
	s_add_u32 s0, s0, _Z53ncclDevFunc_AllReduce_RING_SIMPLE_MinMax_f8e5m2_0_0_4v@rel32@lo+4
	s_addc_u32 s1, s1, _Z53ncclDevFunc_AllReduce_RING_SIMPLE_MinMax_f8e5m2_0_0_4v@rel32@hi+12
	s_mov_b64 s[4:5], s[48:49]
	s_mov_b64 s[6:7], s[38:39]
	;; [unrolled: 1-line block ×3, first 2 shown]
	s_mov_b32 s12, s55
	s_mov_b32 s13, s54
	;; [unrolled: 1-line block ×3, first 2 shown]
	v_mov_b32_e32 v31, v40
	s_swappc_b64 s[30:31], s[0:1]
	s_mov_b64 s[0:1], 0
.LBB2_207:                              ;   in Loop: Header=BB2_82 Depth=1
	s_andn2_b64 vcc, exec, s[0:1]
	s_cbranch_vccnz .LBB2_209
; %bb.208:                              ;   in Loop: Header=BB2_82 Depth=1
	s_add_u32 s8, s36, 0x1000
	s_addc_u32 s9, s37, 0
	s_getpc_b64 s[0:1]
	s_add_u32 s0, s0, _Z53ncclDevFunc_AllReduce_RING_SIMPLE_MinMax_f8e4m3_1_0_4v@rel32@lo+4
	s_addc_u32 s1, s1, _Z53ncclDevFunc_AllReduce_RING_SIMPLE_MinMax_f8e4m3_1_0_4v@rel32@hi+12
	s_mov_b64 s[4:5], s[48:49]
	s_mov_b64 s[6:7], s[38:39]
	;; [unrolled: 1-line block ×3, first 2 shown]
	s_mov_b32 s12, s55
	s_mov_b32 s13, s54
	;; [unrolled: 1-line block ×3, first 2 shown]
	v_mov_b32_e32 v31, v40
	s_swappc_b64 s[30:31], s[0:1]
.LBB2_209:                              ;   in Loop: Header=BB2_82 Depth=1
	s_mov_b64 s[0:1], 0
.LBB2_210:                              ;   in Loop: Header=BB2_82 Depth=1
	s_andn2_b64 vcc, exec, s[0:1]
	s_cbranch_vccnz .LBB2_212
; %bb.211:                              ;   in Loop: Header=BB2_82 Depth=1
	s_add_u32 s8, s36, 0x1000
	s_addc_u32 s9, s37, 0
	s_getpc_b64 s[0:1]
	s_add_u32 s0, s0, _Z53ncclDevFunc_AllReduce_RING_SIMPLE_MinMax_f8e4m3_0_0_4v@rel32@lo+4
	s_addc_u32 s1, s1, _Z53ncclDevFunc_AllReduce_RING_SIMPLE_MinMax_f8e4m3_0_0_4v@rel32@hi+12
	s_mov_b64 s[4:5], s[48:49]
	s_mov_b64 s[6:7], s[38:39]
	s_mov_b64 s[10:11], s[34:35]
	s_mov_b32 s12, s55
	s_mov_b32 s13, s54
	;; [unrolled: 1-line block ×3, first 2 shown]
	v_mov_b32_e32 v31, v40
	s_swappc_b64 s[30:31], s[0:1]
.LBB2_212:                              ;   in Loop: Header=BB2_82 Depth=1
	s_mov_b64 s[0:1], 0
.LBB2_213:                              ;   in Loop: Header=BB2_82 Depth=1
	s_and_b64 vcc, exec, s[0:1]
	s_cbranch_vccz .LBB2_218
; %bb.214:                              ;   in Loop: Header=BB2_82 Depth=1
	s_cmpk_eq_i32 s81, 0x92
	s_mov_b64 s[0:1], -1
	s_cbranch_scc1 .LBB2_216
; %bb.215:                              ;   in Loop: Header=BB2_82 Depth=1
	s_add_u32 s8, s36, 0x1000
	s_addc_u32 s9, s37, 0
	s_getpc_b64 s[0:1]
	s_add_u32 s0, s0, _Z51ncclDevFunc_AllReduce_RING_SIMPLE_MinMax_bf16_1_0_4v@rel32@lo+4
	s_addc_u32 s1, s1, _Z51ncclDevFunc_AllReduce_RING_SIMPLE_MinMax_bf16_1_0_4v@rel32@hi+12
	s_mov_b64 s[4:5], s[48:49]
	s_mov_b64 s[6:7], s[38:39]
	;; [unrolled: 1-line block ×3, first 2 shown]
	s_mov_b32 s12, s55
	s_mov_b32 s13, s54
	;; [unrolled: 1-line block ×3, first 2 shown]
	v_mov_b32_e32 v31, v40
	s_swappc_b64 s[30:31], s[0:1]
	s_mov_b64 s[0:1], 0
.LBB2_216:                              ;   in Loop: Header=BB2_82 Depth=1
	s_andn2_b64 vcc, exec, s[0:1]
	s_cbranch_vccnz .LBB2_218
; %bb.217:                              ;   in Loop: Header=BB2_82 Depth=1
	s_add_u32 s8, s36, 0x1000
	s_addc_u32 s9, s37, 0
	s_getpc_b64 s[0:1]
	s_add_u32 s0, s0, _Z51ncclDevFunc_AllReduce_RING_SIMPLE_MinMax_bf16_1_1_4v@rel32@lo+4
	s_addc_u32 s1, s1, _Z51ncclDevFunc_AllReduce_RING_SIMPLE_MinMax_bf16_1_1_4v@rel32@hi+12
	s_mov_b64 s[4:5], s[48:49]
	s_mov_b64 s[6:7], s[38:39]
	;; [unrolled: 1-line block ×3, first 2 shown]
	s_mov_b32 s12, s55
	s_mov_b32 s13, s54
	;; [unrolled: 1-line block ×3, first 2 shown]
	v_mov_b32_e32 v31, v40
	s_swappc_b64 s[30:31], s[0:1]
.LBB2_218:                              ;   in Loop: Header=BB2_82 Depth=1
	s_mov_b64 s[0:1], 0
.LBB2_219:                              ;   in Loop: Header=BB2_82 Depth=1
	s_andn2_b64 vcc, exec, s[0:1]
	s_cbranch_vccnz .LBB2_257
; %bb.220:                              ;   in Loop: Header=BB2_82 Depth=1
	s_cmpk_gt_u32 s81, 0x8a
	s_mov_b64 s[0:1], -1
	s_cbranch_scc0 .LBB2_241
; %bb.221:                              ;   in Loop: Header=BB2_82 Depth=1
	s_cmpk_gt_u32 s81, 0x8d
	s_cbranch_scc0 .LBB2_231
; %bb.222:                              ;   in Loop: Header=BB2_82 Depth=1
	s_sext_i32_i16 s0, s80
	s_cmpk_lt_i32 s0, 0x8f
	s_mov_b64 s[0:1], -1
	s_cbranch_scc1 .LBB2_228
; %bb.223:                              ;   in Loop: Header=BB2_82 Depth=1
	s_cmpk_lg_i32 s81, 0x8f
	s_cbranch_scc0 .LBB2_225
; %bb.224:                              ;   in Loop: Header=BB2_82 Depth=1
	s_add_u32 s8, s36, 0x1000
	s_addc_u32 s9, s37, 0
	s_getpc_b64 s[0:1]
	s_add_u32 s0, s0, _Z51ncclDevFunc_AllReduce_RING_SIMPLE_MinMax_bf16_0_1_4v@rel32@lo+4
	s_addc_u32 s1, s1, _Z51ncclDevFunc_AllReduce_RING_SIMPLE_MinMax_bf16_0_1_4v@rel32@hi+12
	s_mov_b64 s[4:5], s[48:49]
	s_mov_b64 s[6:7], s[38:39]
	;; [unrolled: 1-line block ×3, first 2 shown]
	s_mov_b32 s12, s55
	s_mov_b32 s13, s54
	;; [unrolled: 1-line block ×3, first 2 shown]
	v_mov_b32_e32 v31, v40
	s_swappc_b64 s[30:31], s[0:1]
	s_mov_b64 s[0:1], 0
.LBB2_225:                              ;   in Loop: Header=BB2_82 Depth=1
	s_andn2_b64 vcc, exec, s[0:1]
	s_cbranch_vccnz .LBB2_227
; %bb.226:                              ;   in Loop: Header=BB2_82 Depth=1
	s_add_u32 s8, s36, 0x1000
	s_addc_u32 s9, s37, 0
	s_getpc_b64 s[0:1]
	s_add_u32 s0, s0, _Z51ncclDevFunc_AllReduce_RING_SIMPLE_MinMax_bf16_0_0_4v@rel32@lo+4
	s_addc_u32 s1, s1, _Z51ncclDevFunc_AllReduce_RING_SIMPLE_MinMax_bf16_0_0_4v@rel32@hi+12
	s_mov_b64 s[4:5], s[48:49]
	s_mov_b64 s[6:7], s[38:39]
	;; [unrolled: 1-line block ×3, first 2 shown]
	s_mov_b32 s12, s55
	s_mov_b32 s13, s54
	;; [unrolled: 1-line block ×3, first 2 shown]
	v_mov_b32_e32 v31, v40
	s_swappc_b64 s[30:31], s[0:1]
.LBB2_227:                              ;   in Loop: Header=BB2_82 Depth=1
	s_mov_b64 s[0:1], 0
.LBB2_228:                              ;   in Loop: Header=BB2_82 Depth=1
	s_andn2_b64 vcc, exec, s[0:1]
	s_cbranch_vccnz .LBB2_230
; %bb.229:                              ;   in Loop: Header=BB2_82 Depth=1
	s_add_u32 s8, s36, 0x1000
	s_addc_u32 s9, s37, 0
	s_getpc_b64 s[0:1]
	s_add_u32 s0, s0, _Z50ncclDevFunc_AllReduce_RING_SIMPLE_MinMax_f64_1_0_4v@rel32@lo+4
	s_addc_u32 s1, s1, _Z50ncclDevFunc_AllReduce_RING_SIMPLE_MinMax_f64_1_0_4v@rel32@hi+12
	s_mov_b64 s[4:5], s[48:49]
	s_mov_b64 s[6:7], s[38:39]
	;; [unrolled: 1-line block ×3, first 2 shown]
	s_mov_b32 s12, s55
	s_mov_b32 s13, s54
	;; [unrolled: 1-line block ×3, first 2 shown]
	v_mov_b32_e32 v31, v40
	s_swappc_b64 s[30:31], s[0:1]
.LBB2_230:                              ;   in Loop: Header=BB2_82 Depth=1
	s_mov_b64 s[0:1], 0
.LBB2_231:                              ;   in Loop: Header=BB2_82 Depth=1
	s_and_b64 vcc, exec, s[0:1]
	s_cbranch_vccz .LBB2_240
; %bb.232:                              ;   in Loop: Header=BB2_82 Depth=1
	s_sext_i32_i16 s0, s80
	s_cmpk_lt_i32 s0, 0x8c
	s_mov_b64 s[0:1], -1
	s_cbranch_scc1 .LBB2_238
; %bb.233:                              ;   in Loop: Header=BB2_82 Depth=1
	s_cmpk_lg_i32 s81, 0x8c
	s_cbranch_scc0 .LBB2_235
; %bb.234:                              ;   in Loop: Header=BB2_82 Depth=1
	s_add_u32 s8, s36, 0x1000
	s_addc_u32 s9, s37, 0
	s_getpc_b64 s[0:1]
	s_add_u32 s0, s0, _Z50ncclDevFunc_AllReduce_RING_SIMPLE_MinMax_f64_0_0_4v@rel32@lo+4
	s_addc_u32 s1, s1, _Z50ncclDevFunc_AllReduce_RING_SIMPLE_MinMax_f64_0_0_4v@rel32@hi+12
	s_mov_b64 s[4:5], s[48:49]
	s_mov_b64 s[6:7], s[38:39]
	;; [unrolled: 1-line block ×3, first 2 shown]
	s_mov_b32 s12, s55
	s_mov_b32 s13, s54
	s_mov_b32 s14, s33
	v_mov_b32_e32 v31, v40
	s_swappc_b64 s[30:31], s[0:1]
	s_mov_b64 s[0:1], 0
.LBB2_235:                              ;   in Loop: Header=BB2_82 Depth=1
	s_andn2_b64 vcc, exec, s[0:1]
	s_cbranch_vccnz .LBB2_237
; %bb.236:                              ;   in Loop: Header=BB2_82 Depth=1
	s_add_u32 s8, s36, 0x1000
	s_addc_u32 s9, s37, 0
	s_getpc_b64 s[0:1]
	s_add_u32 s0, s0, _Z50ncclDevFunc_AllReduce_RING_SIMPLE_MinMax_f32_1_0_4v@rel32@lo+4
	s_addc_u32 s1, s1, _Z50ncclDevFunc_AllReduce_RING_SIMPLE_MinMax_f32_1_0_4v@rel32@hi+12
	s_mov_b64 s[4:5], s[48:49]
	s_mov_b64 s[6:7], s[38:39]
	;; [unrolled: 1-line block ×3, first 2 shown]
	s_mov_b32 s12, s55
	s_mov_b32 s13, s54
	;; [unrolled: 1-line block ×3, first 2 shown]
	v_mov_b32_e32 v31, v40
	s_swappc_b64 s[30:31], s[0:1]
.LBB2_237:                              ;   in Loop: Header=BB2_82 Depth=1
	s_mov_b64 s[0:1], 0
.LBB2_238:                              ;   in Loop: Header=BB2_82 Depth=1
	s_andn2_b64 vcc, exec, s[0:1]
	s_cbranch_vccnz .LBB2_240
; %bb.239:                              ;   in Loop: Header=BB2_82 Depth=1
	s_add_u32 s8, s36, 0x1000
	s_addc_u32 s9, s37, 0
	s_getpc_b64 s[0:1]
	s_add_u32 s0, s0, _Z50ncclDevFunc_AllReduce_RING_SIMPLE_MinMax_f32_0_0_4v@rel32@lo+4
	s_addc_u32 s1, s1, _Z50ncclDevFunc_AllReduce_RING_SIMPLE_MinMax_f32_0_0_4v@rel32@hi+12
	s_mov_b64 s[4:5], s[48:49]
	s_mov_b64 s[6:7], s[38:39]
	;; [unrolled: 1-line block ×3, first 2 shown]
	s_mov_b32 s12, s55
	s_mov_b32 s13, s54
	;; [unrolled: 1-line block ×3, first 2 shown]
	v_mov_b32_e32 v31, v40
	s_swappc_b64 s[30:31], s[0:1]
.LBB2_240:                              ;   in Loop: Header=BB2_82 Depth=1
	s_mov_b64 s[0:1], 0
.LBB2_241:                              ;   in Loop: Header=BB2_82 Depth=1
	s_andn2_b64 vcc, exec, s[0:1]
	s_cbranch_vccnz .LBB2_257
; %bb.242:                              ;   in Loop: Header=BB2_82 Depth=1
	s_cmpk_gt_u32 s81, 0x87
	s_mov_b64 s[0:1], -1
	s_cbranch_scc0 .LBB2_252
; %bb.243:                              ;   in Loop: Header=BB2_82 Depth=1
	s_sext_i32_i16 s0, s80
	s_cmpk_lt_i32 s0, 0x89
	s_mov_b64 s[0:1], -1
	s_cbranch_scc1 .LBB2_249
; %bb.244:                              ;   in Loop: Header=BB2_82 Depth=1
	s_cmpk_lg_i32 s81, 0x89
	s_cbranch_scc0 .LBB2_246
; %bb.245:                              ;   in Loop: Header=BB2_82 Depth=1
	s_add_u32 s8, s36, 0x1000
	s_addc_u32 s9, s37, 0
	s_getpc_b64 s[0:1]
	s_add_u32 s0, s0, _Z50ncclDevFunc_AllReduce_RING_SIMPLE_MinMax_f16_1_0_4v@rel32@lo+4
	s_addc_u32 s1, s1, _Z50ncclDevFunc_AllReduce_RING_SIMPLE_MinMax_f16_1_0_4v@rel32@hi+12
	s_mov_b64 s[4:5], s[48:49]
	s_mov_b64 s[6:7], s[38:39]
	;; [unrolled: 1-line block ×3, first 2 shown]
	s_mov_b32 s12, s55
	s_mov_b32 s13, s54
	;; [unrolled: 1-line block ×3, first 2 shown]
	v_mov_b32_e32 v31, v40
	s_swappc_b64 s[30:31], s[0:1]
	s_mov_b64 s[0:1], 0
.LBB2_246:                              ;   in Loop: Header=BB2_82 Depth=1
	s_andn2_b64 vcc, exec, s[0:1]
	s_cbranch_vccnz .LBB2_248
; %bb.247:                              ;   in Loop: Header=BB2_82 Depth=1
	s_add_u32 s8, s36, 0x1000
	s_addc_u32 s9, s37, 0
	s_getpc_b64 s[0:1]
	s_add_u32 s0, s0, _Z50ncclDevFunc_AllReduce_RING_SIMPLE_MinMax_f16_0_0_4v@rel32@lo+4
	s_addc_u32 s1, s1, _Z50ncclDevFunc_AllReduce_RING_SIMPLE_MinMax_f16_0_0_4v@rel32@hi+12
	s_mov_b64 s[4:5], s[48:49]
	s_mov_b64 s[6:7], s[38:39]
	;; [unrolled: 1-line block ×3, first 2 shown]
	s_mov_b32 s12, s55
	s_mov_b32 s13, s54
	;; [unrolled: 1-line block ×3, first 2 shown]
	v_mov_b32_e32 v31, v40
	s_swappc_b64 s[30:31], s[0:1]
.LBB2_248:                              ;   in Loop: Header=BB2_82 Depth=1
	s_mov_b64 s[0:1], 0
.LBB2_249:                              ;   in Loop: Header=BB2_82 Depth=1
	s_andn2_b64 vcc, exec, s[0:1]
	s_cbranch_vccnz .LBB2_251
; %bb.250:                              ;   in Loop: Header=BB2_82 Depth=1
	s_add_u32 s8, s36, 0x1000
	s_addc_u32 s9, s37, 0
	s_getpc_b64 s[0:1]
	s_add_u32 s0, s0, _Z50ncclDevFunc_AllReduce_RING_SIMPLE_MinMax_u64_1_0_4v@rel32@lo+4
	s_addc_u32 s1, s1, _Z50ncclDevFunc_AllReduce_RING_SIMPLE_MinMax_u64_1_0_4v@rel32@hi+12
	s_mov_b64 s[4:5], s[48:49]
	s_mov_b64 s[6:7], s[38:39]
	;; [unrolled: 1-line block ×3, first 2 shown]
	s_mov_b32 s12, s55
	s_mov_b32 s13, s54
	;; [unrolled: 1-line block ×3, first 2 shown]
	v_mov_b32_e32 v31, v40
	s_swappc_b64 s[30:31], s[0:1]
.LBB2_251:                              ;   in Loop: Header=BB2_82 Depth=1
	s_mov_b64 s[0:1], 0
.LBB2_252:                              ;   in Loop: Header=BB2_82 Depth=1
	s_and_b64 vcc, exec, s[0:1]
	s_cbranch_vccz .LBB2_257
; %bb.253:                              ;   in Loop: Header=BB2_82 Depth=1
	s_cmpk_eq_i32 s81, 0x87
	s_mov_b64 s[0:1], -1
	s_cbranch_scc1 .LBB2_255
; %bb.254:                              ;   in Loop: Header=BB2_82 Depth=1
	s_add_u32 s8, s36, 0x1000
	s_addc_u32 s9, s37, 0
	s_getpc_b64 s[0:1]
	s_add_u32 s0, s0, _Z50ncclDevFunc_AllReduce_RING_SIMPLE_MinMax_u32_1_0_4v@rel32@lo+4
	s_addc_u32 s1, s1, _Z50ncclDevFunc_AllReduce_RING_SIMPLE_MinMax_u32_1_0_4v@rel32@hi+12
	s_mov_b64 s[4:5], s[48:49]
	s_mov_b64 s[6:7], s[38:39]
	s_mov_b64 s[10:11], s[34:35]
	s_mov_b32 s12, s55
	s_mov_b32 s13, s54
	;; [unrolled: 1-line block ×3, first 2 shown]
	v_mov_b32_e32 v31, v40
	s_swappc_b64 s[30:31], s[0:1]
	s_mov_b64 s[0:1], 0
.LBB2_255:                              ;   in Loop: Header=BB2_82 Depth=1
	s_andn2_b64 vcc, exec, s[0:1]
	s_cbranch_vccnz .LBB2_257
; %bb.256:                              ;   in Loop: Header=BB2_82 Depth=1
	s_add_u32 s8, s36, 0x1000
	s_addc_u32 s9, s37, 0
	s_getpc_b64 s[0:1]
	s_add_u32 s0, s0, _Z50ncclDevFunc_AllReduce_RING_SIMPLE_MinMax_u64_0_0_4v@rel32@lo+4
	s_addc_u32 s1, s1, _Z50ncclDevFunc_AllReduce_RING_SIMPLE_MinMax_u64_0_0_4v@rel32@hi+12
	s_mov_b64 s[4:5], s[48:49]
	s_mov_b64 s[6:7], s[38:39]
	;; [unrolled: 1-line block ×3, first 2 shown]
	s_mov_b32 s12, s55
	s_mov_b32 s13, s54
	;; [unrolled: 1-line block ×3, first 2 shown]
	v_mov_b32_e32 v31, v40
	s_swappc_b64 s[30:31], s[0:1]
.LBB2_257:                              ;   in Loop: Header=BB2_82 Depth=1
	s_mov_b64 s[0:1], 0
.LBB2_258:                              ;   in Loop: Header=BB2_82 Depth=1
	s_andn2_b64 vcc, exec, s[0:1]
	s_cbranch_vccnz .LBB2_420
; %bb.259:                              ;   in Loop: Header=BB2_82 Depth=1
	s_cmpk_gt_u32 s81, 0x6e
	s_mov_b64 s[0:1], -1
	s_cbranch_scc0 .LBB2_342
; %bb.260:                              ;   in Loop: Header=BB2_82 Depth=1
	s_cmpk_gt_u32 s81, 0x79
	s_cbranch_scc0 .LBB2_303
; %bb.261:                              ;   in Loop: Header=BB2_82 Depth=1
	s_cmpk_gt_u32 s81, 0x7f
	;; [unrolled: 3-line block ×3, first 2 shown]
	s_cbranch_scc0 .LBB2_272
; %bb.263:                              ;   in Loop: Header=BB2_82 Depth=1
	s_sext_i32_i16 s0, s80
	s_cmpk_lt_i32 s0, 0x84
	s_mov_b64 s[0:1], -1
	s_cbranch_scc1 .LBB2_269
; %bb.264:                              ;   in Loop: Header=BB2_82 Depth=1
	s_cmpk_lg_i32 s81, 0x84
	s_cbranch_scc0 .LBB2_266
; %bb.265:                              ;   in Loop: Header=BB2_82 Depth=1
	s_add_u32 s8, s36, 0x1000
	s_addc_u32 s9, s37, 0
	s_getpc_b64 s[0:1]
	s_add_u32 s0, s0, _Z50ncclDevFunc_AllReduce_RING_SIMPLE_MinMax_u32_0_0_4v@rel32@lo+4
	s_addc_u32 s1, s1, _Z50ncclDevFunc_AllReduce_RING_SIMPLE_MinMax_u32_0_0_4v@rel32@hi+12
	s_mov_b64 s[4:5], s[48:49]
	s_mov_b64 s[6:7], s[38:39]
	s_mov_b64 s[10:11], s[34:35]
	s_mov_b32 s12, s55
	s_mov_b32 s13, s54
	;; [unrolled: 1-line block ×3, first 2 shown]
	v_mov_b32_e32 v31, v40
	s_swappc_b64 s[30:31], s[0:1]
	s_mov_b64 s[0:1], 0
.LBB2_266:                              ;   in Loop: Header=BB2_82 Depth=1
	s_andn2_b64 vcc, exec, s[0:1]
	s_cbranch_vccnz .LBB2_268
; %bb.267:                              ;   in Loop: Header=BB2_82 Depth=1
	s_add_u32 s8, s36, 0x1000
	s_addc_u32 s9, s37, 0
	s_getpc_b64 s[0:1]
	s_add_u32 s0, s0, _Z49ncclDevFunc_AllReduce_RING_SIMPLE_MinMax_u8_1_0_4v@rel32@lo+4
	s_addc_u32 s1, s1, _Z49ncclDevFunc_AllReduce_RING_SIMPLE_MinMax_u8_1_0_4v@rel32@hi+12
	s_mov_b64 s[4:5], s[48:49]
	s_mov_b64 s[6:7], s[38:39]
	;; [unrolled: 1-line block ×3, first 2 shown]
	s_mov_b32 s12, s55
	s_mov_b32 s13, s54
	;; [unrolled: 1-line block ×3, first 2 shown]
	v_mov_b32_e32 v31, v40
	s_swappc_b64 s[30:31], s[0:1]
.LBB2_268:                              ;   in Loop: Header=BB2_82 Depth=1
	s_mov_b64 s[0:1], 0
.LBB2_269:                              ;   in Loop: Header=BB2_82 Depth=1
	s_andn2_b64 vcc, exec, s[0:1]
	s_cbranch_vccnz .LBB2_271
; %bb.270:                              ;   in Loop: Header=BB2_82 Depth=1
	s_add_u32 s8, s36, 0x1000
	s_addc_u32 s9, s37, 0
	s_getpc_b64 s[0:1]
	s_add_u32 s0, s0, _Z49ncclDevFunc_AllReduce_RING_SIMPLE_MinMax_u8_0_0_4v@rel32@lo+4
	s_addc_u32 s1, s1, _Z49ncclDevFunc_AllReduce_RING_SIMPLE_MinMax_u8_0_0_4v@rel32@hi+12
	s_mov_b64 s[4:5], s[48:49]
	s_mov_b64 s[6:7], s[38:39]
	s_mov_b64 s[10:11], s[34:35]
	s_mov_b32 s12, s55
	s_mov_b32 s13, s54
	;; [unrolled: 1-line block ×3, first 2 shown]
	v_mov_b32_e32 v31, v40
	s_swappc_b64 s[30:31], s[0:1]
.LBB2_271:                              ;   in Loop: Header=BB2_82 Depth=1
	s_mov_b64 s[0:1], 0
.LBB2_272:                              ;   in Loop: Header=BB2_82 Depth=1
	s_and_b64 vcc, exec, s[0:1]
	s_cbranch_vccz .LBB2_281
; %bb.273:                              ;   in Loop: Header=BB2_82 Depth=1
	s_sext_i32_i16 s0, s80
	s_cmpk_lt_i32 s0, 0x81
	s_mov_b64 s[0:1], -1
	s_cbranch_scc1 .LBB2_279
; %bb.274:                              ;   in Loop: Header=BB2_82 Depth=1
	s_cmpk_lg_i32 s81, 0x81
	s_cbranch_scc0 .LBB2_276
; %bb.275:                              ;   in Loop: Header=BB2_82 Depth=1
	s_add_u32 s8, s36, 0x1000
	s_addc_u32 s9, s37, 0
	s_getpc_b64 s[0:1]
	s_add_u32 s0, s0, _Z51ncclDevFunc_AllReduce_RING_SIMPLE_Prod_f8e5m2_1_0_4v@rel32@lo+4
	s_addc_u32 s1, s1, _Z51ncclDevFunc_AllReduce_RING_SIMPLE_Prod_f8e5m2_1_0_4v@rel32@hi+12
	s_mov_b64 s[4:5], s[48:49]
	s_mov_b64 s[6:7], s[38:39]
	;; [unrolled: 1-line block ×3, first 2 shown]
	s_mov_b32 s12, s55
	s_mov_b32 s13, s54
	;; [unrolled: 1-line block ×3, first 2 shown]
	v_mov_b32_e32 v31, v40
	s_swappc_b64 s[30:31], s[0:1]
	s_mov_b64 s[0:1], 0
.LBB2_276:                              ;   in Loop: Header=BB2_82 Depth=1
	s_andn2_b64 vcc, exec, s[0:1]
	s_cbranch_vccnz .LBB2_278
; %bb.277:                              ;   in Loop: Header=BB2_82 Depth=1
	s_add_u32 s8, s36, 0x1000
	s_addc_u32 s9, s37, 0
	s_getpc_b64 s[0:1]
	s_add_u32 s0, s0, _Z51ncclDevFunc_AllReduce_RING_SIMPLE_Prod_f8e5m2_0_0_4v@rel32@lo+4
	s_addc_u32 s1, s1, _Z51ncclDevFunc_AllReduce_RING_SIMPLE_Prod_f8e5m2_0_0_4v@rel32@hi+12
	s_mov_b64 s[4:5], s[48:49]
	s_mov_b64 s[6:7], s[38:39]
	;; [unrolled: 1-line block ×3, first 2 shown]
	s_mov_b32 s12, s55
	s_mov_b32 s13, s54
	;; [unrolled: 1-line block ×3, first 2 shown]
	v_mov_b32_e32 v31, v40
	s_swappc_b64 s[30:31], s[0:1]
.LBB2_278:                              ;   in Loop: Header=BB2_82 Depth=1
	s_mov_b64 s[0:1], 0
.LBB2_279:                              ;   in Loop: Header=BB2_82 Depth=1
	s_andn2_b64 vcc, exec, s[0:1]
	s_cbranch_vccnz .LBB2_281
; %bb.280:                              ;   in Loop: Header=BB2_82 Depth=1
	s_add_u32 s8, s36, 0x1000
	s_addc_u32 s9, s37, 0
	s_getpc_b64 s[0:1]
	s_add_u32 s0, s0, _Z51ncclDevFunc_AllReduce_RING_SIMPLE_Prod_f8e4m3_1_0_4v@rel32@lo+4
	s_addc_u32 s1, s1, _Z51ncclDevFunc_AllReduce_RING_SIMPLE_Prod_f8e4m3_1_0_4v@rel32@hi+12
	s_mov_b64 s[4:5], s[48:49]
	s_mov_b64 s[6:7], s[38:39]
	;; [unrolled: 1-line block ×3, first 2 shown]
	s_mov_b32 s12, s55
	s_mov_b32 s13, s54
	s_mov_b32 s14, s33
	v_mov_b32_e32 v31, v40
	s_swappc_b64 s[30:31], s[0:1]
.LBB2_281:                              ;   in Loop: Header=BB2_82 Depth=1
	s_mov_b64 s[0:1], 0
.LBB2_282:                              ;   in Loop: Header=BB2_82 Depth=1
	s_andn2_b64 vcc, exec, s[0:1]
	s_cbranch_vccnz .LBB2_302
; %bb.283:                              ;   in Loop: Header=BB2_82 Depth=1
	s_cmpk_gt_u32 s81, 0x7c
	s_mov_b64 s[0:1], -1
	s_cbranch_scc0 .LBB2_293
; %bb.284:                              ;   in Loop: Header=BB2_82 Depth=1
	s_sext_i32_i16 s0, s80
	s_cmpk_lt_i32 s0, 0x7e
	s_mov_b64 s[0:1], -1
	s_cbranch_scc1 .LBB2_290
; %bb.285:                              ;   in Loop: Header=BB2_82 Depth=1
	s_cmpk_lg_i32 s81, 0x7e
	s_cbranch_scc0 .LBB2_287
; %bb.286:                              ;   in Loop: Header=BB2_82 Depth=1
	s_add_u32 s8, s36, 0x1000
	s_addc_u32 s9, s37, 0
	s_getpc_b64 s[0:1]
	s_add_u32 s0, s0, _Z51ncclDevFunc_AllReduce_RING_SIMPLE_Prod_f8e4m3_0_0_4v@rel32@lo+4
	s_addc_u32 s1, s1, _Z51ncclDevFunc_AllReduce_RING_SIMPLE_Prod_f8e4m3_0_0_4v@rel32@hi+12
	s_mov_b64 s[4:5], s[48:49]
	s_mov_b64 s[6:7], s[38:39]
	;; [unrolled: 1-line block ×3, first 2 shown]
	s_mov_b32 s12, s55
	s_mov_b32 s13, s54
	;; [unrolled: 1-line block ×3, first 2 shown]
	v_mov_b32_e32 v31, v40
	s_swappc_b64 s[30:31], s[0:1]
	s_mov_b64 s[0:1], 0
.LBB2_287:                              ;   in Loop: Header=BB2_82 Depth=1
	s_andn2_b64 vcc, exec, s[0:1]
	s_cbranch_vccnz .LBB2_289
; %bb.288:                              ;   in Loop: Header=BB2_82 Depth=1
	s_add_u32 s8, s36, 0x1000
	s_addc_u32 s9, s37, 0
	s_getpc_b64 s[0:1]
	s_add_u32 s0, s0, _Z49ncclDevFunc_AllReduce_RING_SIMPLE_Prod_bf16_1_1_4v@rel32@lo+4
	s_addc_u32 s1, s1, _Z49ncclDevFunc_AllReduce_RING_SIMPLE_Prod_bf16_1_1_4v@rel32@hi+12
	s_mov_b64 s[4:5], s[48:49]
	s_mov_b64 s[6:7], s[38:39]
	;; [unrolled: 1-line block ×3, first 2 shown]
	s_mov_b32 s12, s55
	s_mov_b32 s13, s54
	;; [unrolled: 1-line block ×3, first 2 shown]
	v_mov_b32_e32 v31, v40
	s_swappc_b64 s[30:31], s[0:1]
.LBB2_289:                              ;   in Loop: Header=BB2_82 Depth=1
	s_mov_b64 s[0:1], 0
.LBB2_290:                              ;   in Loop: Header=BB2_82 Depth=1
	s_andn2_b64 vcc, exec, s[0:1]
	s_cbranch_vccnz .LBB2_292
; %bb.291:                              ;   in Loop: Header=BB2_82 Depth=1
	s_add_u32 s8, s36, 0x1000
	s_addc_u32 s9, s37, 0
	s_getpc_b64 s[0:1]
	s_add_u32 s0, s0, _Z49ncclDevFunc_AllReduce_RING_SIMPLE_Prod_bf16_1_0_4v@rel32@lo+4
	s_addc_u32 s1, s1, _Z49ncclDevFunc_AllReduce_RING_SIMPLE_Prod_bf16_1_0_4v@rel32@hi+12
	s_mov_b64 s[4:5], s[48:49]
	s_mov_b64 s[6:7], s[38:39]
	;; [unrolled: 1-line block ×3, first 2 shown]
	s_mov_b32 s12, s55
	s_mov_b32 s13, s54
	;; [unrolled: 1-line block ×3, first 2 shown]
	v_mov_b32_e32 v31, v40
	s_swappc_b64 s[30:31], s[0:1]
.LBB2_292:                              ;   in Loop: Header=BB2_82 Depth=1
	s_mov_b64 s[0:1], 0
.LBB2_293:                              ;   in Loop: Header=BB2_82 Depth=1
	s_and_b64 vcc, exec, s[0:1]
	s_cbranch_vccz .LBB2_302
; %bb.294:                              ;   in Loop: Header=BB2_82 Depth=1
	s_sext_i32_i16 s0, s80
	s_cmpk_lt_i32 s0, 0x7b
	s_mov_b64 s[0:1], -1
	s_cbranch_scc1 .LBB2_300
; %bb.295:                              ;   in Loop: Header=BB2_82 Depth=1
	s_cmpk_lg_i32 s81, 0x7b
	s_cbranch_scc0 .LBB2_297
; %bb.296:                              ;   in Loop: Header=BB2_82 Depth=1
	s_add_u32 s8, s36, 0x1000
	s_addc_u32 s9, s37, 0
	s_getpc_b64 s[0:1]
	s_add_u32 s0, s0, _Z49ncclDevFunc_AllReduce_RING_SIMPLE_Prod_bf16_0_1_4v@rel32@lo+4
	s_addc_u32 s1, s1, _Z49ncclDevFunc_AllReduce_RING_SIMPLE_Prod_bf16_0_1_4v@rel32@hi+12
	s_mov_b64 s[4:5], s[48:49]
	s_mov_b64 s[6:7], s[38:39]
	;; [unrolled: 1-line block ×3, first 2 shown]
	s_mov_b32 s12, s55
	s_mov_b32 s13, s54
	;; [unrolled: 1-line block ×3, first 2 shown]
	v_mov_b32_e32 v31, v40
	s_swappc_b64 s[30:31], s[0:1]
	s_mov_b64 s[0:1], 0
.LBB2_297:                              ;   in Loop: Header=BB2_82 Depth=1
	s_andn2_b64 vcc, exec, s[0:1]
	s_cbranch_vccnz .LBB2_299
; %bb.298:                              ;   in Loop: Header=BB2_82 Depth=1
	s_add_u32 s8, s36, 0x1000
	s_addc_u32 s9, s37, 0
	s_getpc_b64 s[0:1]
	s_add_u32 s0, s0, _Z49ncclDevFunc_AllReduce_RING_SIMPLE_Prod_bf16_0_0_4v@rel32@lo+4
	s_addc_u32 s1, s1, _Z49ncclDevFunc_AllReduce_RING_SIMPLE_Prod_bf16_0_0_4v@rel32@hi+12
	s_mov_b64 s[4:5], s[48:49]
	s_mov_b64 s[6:7], s[38:39]
	;; [unrolled: 1-line block ×3, first 2 shown]
	s_mov_b32 s12, s55
	s_mov_b32 s13, s54
	;; [unrolled: 1-line block ×3, first 2 shown]
	v_mov_b32_e32 v31, v40
	s_swappc_b64 s[30:31], s[0:1]
.LBB2_299:                              ;   in Loop: Header=BB2_82 Depth=1
	s_mov_b64 s[0:1], 0
.LBB2_300:                              ;   in Loop: Header=BB2_82 Depth=1
	s_andn2_b64 vcc, exec, s[0:1]
	s_cbranch_vccnz .LBB2_302
; %bb.301:                              ;   in Loop: Header=BB2_82 Depth=1
	s_add_u32 s8, s36, 0x1000
	s_addc_u32 s9, s37, 0
	s_getpc_b64 s[0:1]
	s_add_u32 s0, s0, _Z48ncclDevFunc_AllReduce_RING_SIMPLE_Prod_f64_1_0_4v@rel32@lo+4
	s_addc_u32 s1, s1, _Z48ncclDevFunc_AllReduce_RING_SIMPLE_Prod_f64_1_0_4v@rel32@hi+12
	s_mov_b64 s[4:5], s[48:49]
	s_mov_b64 s[6:7], s[38:39]
	;; [unrolled: 1-line block ×3, first 2 shown]
	s_mov_b32 s12, s55
	s_mov_b32 s13, s54
	;; [unrolled: 1-line block ×3, first 2 shown]
	v_mov_b32_e32 v31, v40
	s_swappc_b64 s[30:31], s[0:1]
.LBB2_302:                              ;   in Loop: Header=BB2_82 Depth=1
	s_mov_b64 s[0:1], 0
.LBB2_303:                              ;   in Loop: Header=BB2_82 Depth=1
	s_andn2_b64 vcc, exec, s[0:1]
	s_cbranch_vccnz .LBB2_341
; %bb.304:                              ;   in Loop: Header=BB2_82 Depth=1
	s_cmpk_gt_u32 s81, 0x73
	s_mov_b64 s[0:1], -1
	s_cbranch_scc0 .LBB2_325
; %bb.305:                              ;   in Loop: Header=BB2_82 Depth=1
	s_cmpk_gt_u32 s81, 0x76
	s_cbranch_scc0 .LBB2_315
; %bb.306:                              ;   in Loop: Header=BB2_82 Depth=1
	s_sext_i32_i16 s0, s80
	s_cmpk_lt_i32 s0, 0x78
	s_mov_b64 s[0:1], -1
	s_cbranch_scc1 .LBB2_312
; %bb.307:                              ;   in Loop: Header=BB2_82 Depth=1
	s_cmpk_lg_i32 s81, 0x78
	s_cbranch_scc0 .LBB2_309
; %bb.308:                              ;   in Loop: Header=BB2_82 Depth=1
	s_add_u32 s8, s36, 0x1000
	s_addc_u32 s9, s37, 0
	s_getpc_b64 s[0:1]
	s_add_u32 s0, s0, _Z48ncclDevFunc_AllReduce_RING_SIMPLE_Prod_f64_0_0_4v@rel32@lo+4
	s_addc_u32 s1, s1, _Z48ncclDevFunc_AllReduce_RING_SIMPLE_Prod_f64_0_0_4v@rel32@hi+12
	s_mov_b64 s[4:5], s[48:49]
	s_mov_b64 s[6:7], s[38:39]
	;; [unrolled: 1-line block ×3, first 2 shown]
	s_mov_b32 s12, s55
	s_mov_b32 s13, s54
	;; [unrolled: 1-line block ×3, first 2 shown]
	v_mov_b32_e32 v31, v40
	s_swappc_b64 s[30:31], s[0:1]
	s_mov_b64 s[0:1], 0
.LBB2_309:                              ;   in Loop: Header=BB2_82 Depth=1
	s_andn2_b64 vcc, exec, s[0:1]
	s_cbranch_vccnz .LBB2_311
; %bb.310:                              ;   in Loop: Header=BB2_82 Depth=1
	s_add_u32 s8, s36, 0x1000
	s_addc_u32 s9, s37, 0
	s_getpc_b64 s[0:1]
	s_add_u32 s0, s0, _Z48ncclDevFunc_AllReduce_RING_SIMPLE_Prod_f32_1_0_4v@rel32@lo+4
	s_addc_u32 s1, s1, _Z48ncclDevFunc_AllReduce_RING_SIMPLE_Prod_f32_1_0_4v@rel32@hi+12
	s_mov_b64 s[4:5], s[48:49]
	s_mov_b64 s[6:7], s[38:39]
	;; [unrolled: 1-line block ×3, first 2 shown]
	s_mov_b32 s12, s55
	s_mov_b32 s13, s54
	;; [unrolled: 1-line block ×3, first 2 shown]
	v_mov_b32_e32 v31, v40
	s_swappc_b64 s[30:31], s[0:1]
.LBB2_311:                              ;   in Loop: Header=BB2_82 Depth=1
	s_mov_b64 s[0:1], 0
.LBB2_312:                              ;   in Loop: Header=BB2_82 Depth=1
	s_andn2_b64 vcc, exec, s[0:1]
	s_cbranch_vccnz .LBB2_314
; %bb.313:                              ;   in Loop: Header=BB2_82 Depth=1
	s_add_u32 s8, s36, 0x1000
	s_addc_u32 s9, s37, 0
	s_getpc_b64 s[0:1]
	s_add_u32 s0, s0, _Z48ncclDevFunc_AllReduce_RING_SIMPLE_Prod_f32_0_0_4v@rel32@lo+4
	s_addc_u32 s1, s1, _Z48ncclDevFunc_AllReduce_RING_SIMPLE_Prod_f32_0_0_4v@rel32@hi+12
	s_mov_b64 s[4:5], s[48:49]
	s_mov_b64 s[6:7], s[38:39]
	;; [unrolled: 1-line block ×3, first 2 shown]
	s_mov_b32 s12, s55
	s_mov_b32 s13, s54
	;; [unrolled: 1-line block ×3, first 2 shown]
	v_mov_b32_e32 v31, v40
	s_swappc_b64 s[30:31], s[0:1]
.LBB2_314:                              ;   in Loop: Header=BB2_82 Depth=1
	s_mov_b64 s[0:1], 0
.LBB2_315:                              ;   in Loop: Header=BB2_82 Depth=1
	s_and_b64 vcc, exec, s[0:1]
	s_cbranch_vccz .LBB2_324
; %bb.316:                              ;   in Loop: Header=BB2_82 Depth=1
	s_sext_i32_i16 s0, s80
	s_cmpk_lt_i32 s0, 0x75
	s_mov_b64 s[0:1], -1
	s_cbranch_scc1 .LBB2_322
; %bb.317:                              ;   in Loop: Header=BB2_82 Depth=1
	s_cmpk_lg_i32 s81, 0x75
	s_cbranch_scc0 .LBB2_319
; %bb.318:                              ;   in Loop: Header=BB2_82 Depth=1
	s_add_u32 s8, s36, 0x1000
	s_addc_u32 s9, s37, 0
	s_getpc_b64 s[0:1]
	s_add_u32 s0, s0, _Z48ncclDevFunc_AllReduce_RING_SIMPLE_Prod_f16_1_0_4v@rel32@lo+4
	s_addc_u32 s1, s1, _Z48ncclDevFunc_AllReduce_RING_SIMPLE_Prod_f16_1_0_4v@rel32@hi+12
	s_mov_b64 s[4:5], s[48:49]
	s_mov_b64 s[6:7], s[38:39]
	;; [unrolled: 1-line block ×3, first 2 shown]
	s_mov_b32 s12, s55
	s_mov_b32 s13, s54
	s_mov_b32 s14, s33
	v_mov_b32_e32 v31, v40
	s_swappc_b64 s[30:31], s[0:1]
	s_mov_b64 s[0:1], 0
.LBB2_319:                              ;   in Loop: Header=BB2_82 Depth=1
	s_andn2_b64 vcc, exec, s[0:1]
	s_cbranch_vccnz .LBB2_321
; %bb.320:                              ;   in Loop: Header=BB2_82 Depth=1
	s_add_u32 s8, s36, 0x1000
	s_addc_u32 s9, s37, 0
	s_getpc_b64 s[0:1]
	s_add_u32 s0, s0, _Z48ncclDevFunc_AllReduce_RING_SIMPLE_Prod_f16_0_0_4v@rel32@lo+4
	s_addc_u32 s1, s1, _Z48ncclDevFunc_AllReduce_RING_SIMPLE_Prod_f16_0_0_4v@rel32@hi+12
	s_mov_b64 s[4:5], s[48:49]
	s_mov_b64 s[6:7], s[38:39]
	;; [unrolled: 1-line block ×3, first 2 shown]
	s_mov_b32 s12, s55
	s_mov_b32 s13, s54
	;; [unrolled: 1-line block ×3, first 2 shown]
	v_mov_b32_e32 v31, v40
	s_swappc_b64 s[30:31], s[0:1]
.LBB2_321:                              ;   in Loop: Header=BB2_82 Depth=1
	s_mov_b64 s[0:1], 0
.LBB2_322:                              ;   in Loop: Header=BB2_82 Depth=1
	s_andn2_b64 vcc, exec, s[0:1]
	s_cbranch_vccnz .LBB2_324
; %bb.323:                              ;   in Loop: Header=BB2_82 Depth=1
	s_add_u32 s8, s36, 0x1000
	s_addc_u32 s9, s37, 0
	s_getpc_b64 s[0:1]
	s_add_u32 s0, s0, _Z48ncclDevFunc_AllReduce_RING_SIMPLE_Prod_u64_1_0_4v@rel32@lo+4
	s_addc_u32 s1, s1, _Z48ncclDevFunc_AllReduce_RING_SIMPLE_Prod_u64_1_0_4v@rel32@hi+12
	s_mov_b64 s[4:5], s[48:49]
	s_mov_b64 s[6:7], s[38:39]
	s_mov_b64 s[10:11], s[34:35]
	s_mov_b32 s12, s55
	s_mov_b32 s13, s54
	;; [unrolled: 1-line block ×3, first 2 shown]
	v_mov_b32_e32 v31, v40
	s_swappc_b64 s[30:31], s[0:1]
.LBB2_324:                              ;   in Loop: Header=BB2_82 Depth=1
	s_mov_b64 s[0:1], 0
.LBB2_325:                              ;   in Loop: Header=BB2_82 Depth=1
	s_andn2_b64 vcc, exec, s[0:1]
	s_cbranch_vccnz .LBB2_341
; %bb.326:                              ;   in Loop: Header=BB2_82 Depth=1
	s_cmpk_gt_u32 s81, 0x70
	s_mov_b64 s[0:1], -1
	s_cbranch_scc0 .LBB2_336
; %bb.327:                              ;   in Loop: Header=BB2_82 Depth=1
	s_sext_i32_i16 s0, s80
	s_cmpk_lt_i32 s0, 0x72
	s_mov_b64 s[0:1], -1
	s_cbranch_scc1 .LBB2_333
; %bb.328:                              ;   in Loop: Header=BB2_82 Depth=1
	s_cmpk_lg_i32 s81, 0x72
	s_cbranch_scc0 .LBB2_330
; %bb.329:                              ;   in Loop: Header=BB2_82 Depth=1
	s_add_u32 s8, s36, 0x1000
	s_addc_u32 s9, s37, 0
	s_getpc_b64 s[0:1]
	s_add_u32 s0, s0, _Z48ncclDevFunc_AllReduce_RING_SIMPLE_Prod_u64_0_0_4v@rel32@lo+4
	s_addc_u32 s1, s1, _Z48ncclDevFunc_AllReduce_RING_SIMPLE_Prod_u64_0_0_4v@rel32@hi+12
	s_mov_b64 s[4:5], s[48:49]
	s_mov_b64 s[6:7], s[38:39]
	;; [unrolled: 1-line block ×3, first 2 shown]
	s_mov_b32 s12, s55
	s_mov_b32 s13, s54
	;; [unrolled: 1-line block ×3, first 2 shown]
	v_mov_b32_e32 v31, v40
	s_swappc_b64 s[30:31], s[0:1]
	s_mov_b64 s[0:1], 0
.LBB2_330:                              ;   in Loop: Header=BB2_82 Depth=1
	s_andn2_b64 vcc, exec, s[0:1]
	s_cbranch_vccnz .LBB2_332
; %bb.331:                              ;   in Loop: Header=BB2_82 Depth=1
	s_add_u32 s8, s36, 0x1000
	s_addc_u32 s9, s37, 0
	s_getpc_b64 s[0:1]
	s_add_u32 s0, s0, _Z48ncclDevFunc_AllReduce_RING_SIMPLE_Prod_u32_1_0_4v@rel32@lo+4
	s_addc_u32 s1, s1, _Z48ncclDevFunc_AllReduce_RING_SIMPLE_Prod_u32_1_0_4v@rel32@hi+12
	s_mov_b64 s[4:5], s[48:49]
	s_mov_b64 s[6:7], s[38:39]
	;; [unrolled: 1-line block ×3, first 2 shown]
	s_mov_b32 s12, s55
	s_mov_b32 s13, s54
	;; [unrolled: 1-line block ×3, first 2 shown]
	v_mov_b32_e32 v31, v40
	s_swappc_b64 s[30:31], s[0:1]
.LBB2_332:                              ;   in Loop: Header=BB2_82 Depth=1
	s_mov_b64 s[0:1], 0
.LBB2_333:                              ;   in Loop: Header=BB2_82 Depth=1
	s_andn2_b64 vcc, exec, s[0:1]
	s_cbranch_vccnz .LBB2_335
; %bb.334:                              ;   in Loop: Header=BB2_82 Depth=1
	s_add_u32 s8, s36, 0x1000
	s_addc_u32 s9, s37, 0
	s_getpc_b64 s[0:1]
	s_add_u32 s0, s0, _Z48ncclDevFunc_AllReduce_RING_SIMPLE_Prod_u32_0_0_4v@rel32@lo+4
	s_addc_u32 s1, s1, _Z48ncclDevFunc_AllReduce_RING_SIMPLE_Prod_u32_0_0_4v@rel32@hi+12
	s_mov_b64 s[4:5], s[48:49]
	s_mov_b64 s[6:7], s[38:39]
	;; [unrolled: 1-line block ×3, first 2 shown]
	s_mov_b32 s12, s55
	s_mov_b32 s13, s54
	s_mov_b32 s14, s33
	v_mov_b32_e32 v31, v40
	s_swappc_b64 s[30:31], s[0:1]
.LBB2_335:                              ;   in Loop: Header=BB2_82 Depth=1
	s_mov_b64 s[0:1], 0
.LBB2_336:                              ;   in Loop: Header=BB2_82 Depth=1
	s_and_b64 vcc, exec, s[0:1]
	s_cbranch_vccz .LBB2_341
; %bb.337:                              ;   in Loop: Header=BB2_82 Depth=1
	s_cmpk_eq_i32 s81, 0x70
	s_mov_b64 s[0:1], -1
	s_cbranch_scc1 .LBB2_339
; %bb.338:                              ;   in Loop: Header=BB2_82 Depth=1
	s_add_u32 s8, s36, 0x1000
	s_addc_u32 s9, s37, 0
	s_getpc_b64 s[0:1]
	s_add_u32 s0, s0, _Z47ncclDevFunc_AllReduce_RING_SIMPLE_Prod_u8_0_0_4v@rel32@lo+4
	s_addc_u32 s1, s1, _Z47ncclDevFunc_AllReduce_RING_SIMPLE_Prod_u8_0_0_4v@rel32@hi+12
	s_mov_b64 s[4:5], s[48:49]
	s_mov_b64 s[6:7], s[38:39]
	;; [unrolled: 1-line block ×3, first 2 shown]
	s_mov_b32 s12, s55
	s_mov_b32 s13, s54
	;; [unrolled: 1-line block ×3, first 2 shown]
	v_mov_b32_e32 v31, v40
	s_swappc_b64 s[30:31], s[0:1]
	s_mov_b64 s[0:1], 0
.LBB2_339:                              ;   in Loop: Header=BB2_82 Depth=1
	s_andn2_b64 vcc, exec, s[0:1]
	s_cbranch_vccnz .LBB2_341
; %bb.340:                              ;   in Loop: Header=BB2_82 Depth=1
	s_add_u32 s8, s36, 0x1000
	s_addc_u32 s9, s37, 0
	s_getpc_b64 s[0:1]
	s_add_u32 s0, s0, _Z47ncclDevFunc_AllReduce_RING_SIMPLE_Prod_u8_1_0_4v@rel32@lo+4
	s_addc_u32 s1, s1, _Z47ncclDevFunc_AllReduce_RING_SIMPLE_Prod_u8_1_0_4v@rel32@hi+12
	s_mov_b64 s[4:5], s[48:49]
	s_mov_b64 s[6:7], s[38:39]
	;; [unrolled: 1-line block ×3, first 2 shown]
	s_mov_b32 s12, s55
	s_mov_b32 s13, s54
	;; [unrolled: 1-line block ×3, first 2 shown]
	v_mov_b32_e32 v31, v40
	s_swappc_b64 s[30:31], s[0:1]
.LBB2_341:                              ;   in Loop: Header=BB2_82 Depth=1
	s_mov_b64 s[0:1], 0
.LBB2_342:                              ;   in Loop: Header=BB2_82 Depth=1
	s_andn2_b64 vcc, exec, s[0:1]
	s_cbranch_vccnz .LBB2_420
; %bb.343:                              ;   in Loop: Header=BB2_82 Depth=1
	s_cmpk_gt_u32 s81, 0x63
	s_mov_b64 s[0:1], -1
	s_cbranch_scc0 .LBB2_382
; %bb.344:                              ;   in Loop: Header=BB2_82 Depth=1
	s_cmpk_gt_u32 s81, 0x68
	s_cbranch_scc0 .LBB2_365
; %bb.345:                              ;   in Loop: Header=BB2_82 Depth=1
	s_cmpk_gt_u32 s81, 0x6b
	s_cbranch_scc0 .LBB2_355
; %bb.346:                              ;   in Loop: Header=BB2_82 Depth=1
	s_sext_i32_i16 s0, s80
	s_cmpk_lt_i32 s0, 0x6d
	s_mov_b64 s[0:1], -1
	s_cbranch_scc1 .LBB2_352
; %bb.347:                              ;   in Loop: Header=BB2_82 Depth=1
	s_cmpk_lg_i32 s81, 0x6d
	s_cbranch_scc0 .LBB2_349
; %bb.348:                              ;   in Loop: Header=BB2_82 Depth=1
	s_add_u32 s8, s36, 0x1000
	s_addc_u32 s9, s37, 0
	s_getpc_b64 s[0:1]
	s_add_u32 s0, s0, _Z50ncclDevFunc_AllReduce_RING_SIMPLE_Sum_f8e5m2_1_0_4v@rel32@lo+4
	s_addc_u32 s1, s1, _Z50ncclDevFunc_AllReduce_RING_SIMPLE_Sum_f8e5m2_1_0_4v@rel32@hi+12
	s_mov_b64 s[4:5], s[48:49]
	s_mov_b64 s[6:7], s[38:39]
	;; [unrolled: 1-line block ×3, first 2 shown]
	s_mov_b32 s12, s55
	s_mov_b32 s13, s54
	;; [unrolled: 1-line block ×3, first 2 shown]
	v_mov_b32_e32 v31, v40
	s_swappc_b64 s[30:31], s[0:1]
	s_mov_b64 s[0:1], 0
.LBB2_349:                              ;   in Loop: Header=BB2_82 Depth=1
	s_andn2_b64 vcc, exec, s[0:1]
	s_cbranch_vccnz .LBB2_351
; %bb.350:                              ;   in Loop: Header=BB2_82 Depth=1
	s_add_u32 s8, s36, 0x1000
	s_addc_u32 s9, s37, 0
	s_getpc_b64 s[0:1]
	s_add_u32 s0, s0, _Z50ncclDevFunc_AllReduce_RING_SIMPLE_Sum_f8e5m2_0_0_4v@rel32@lo+4
	s_addc_u32 s1, s1, _Z50ncclDevFunc_AllReduce_RING_SIMPLE_Sum_f8e5m2_0_0_4v@rel32@hi+12
	s_mov_b64 s[4:5], s[48:49]
	s_mov_b64 s[6:7], s[38:39]
	;; [unrolled: 1-line block ×3, first 2 shown]
	s_mov_b32 s12, s55
	s_mov_b32 s13, s54
	;; [unrolled: 1-line block ×3, first 2 shown]
	v_mov_b32_e32 v31, v40
	s_swappc_b64 s[30:31], s[0:1]
.LBB2_351:                              ;   in Loop: Header=BB2_82 Depth=1
	s_mov_b64 s[0:1], 0
.LBB2_352:                              ;   in Loop: Header=BB2_82 Depth=1
	s_andn2_b64 vcc, exec, s[0:1]
	s_cbranch_vccnz .LBB2_354
; %bb.353:                              ;   in Loop: Header=BB2_82 Depth=1
	s_add_u32 s8, s36, 0x1000
	s_addc_u32 s9, s37, 0
	s_getpc_b64 s[0:1]
	s_add_u32 s0, s0, _Z50ncclDevFunc_AllReduce_RING_SIMPLE_Sum_f8e4m3_1_0_4v@rel32@lo+4
	s_addc_u32 s1, s1, _Z50ncclDevFunc_AllReduce_RING_SIMPLE_Sum_f8e4m3_1_0_4v@rel32@hi+12
	s_mov_b64 s[4:5], s[48:49]
	s_mov_b64 s[6:7], s[38:39]
	;; [unrolled: 1-line block ×3, first 2 shown]
	s_mov_b32 s12, s55
	s_mov_b32 s13, s54
	;; [unrolled: 1-line block ×3, first 2 shown]
	v_mov_b32_e32 v31, v40
	s_swappc_b64 s[30:31], s[0:1]
.LBB2_354:                              ;   in Loop: Header=BB2_82 Depth=1
	s_mov_b64 s[0:1], 0
.LBB2_355:                              ;   in Loop: Header=BB2_82 Depth=1
	s_and_b64 vcc, exec, s[0:1]
	s_cbranch_vccz .LBB2_364
; %bb.356:                              ;   in Loop: Header=BB2_82 Depth=1
	s_sext_i32_i16 s0, s80
	s_cmpk_lt_i32 s0, 0x6a
	s_mov_b64 s[0:1], -1
	s_cbranch_scc1 .LBB2_362
; %bb.357:                              ;   in Loop: Header=BB2_82 Depth=1
	s_cmpk_lg_i32 s81, 0x6a
	s_cbranch_scc0 .LBB2_359
; %bb.358:                              ;   in Loop: Header=BB2_82 Depth=1
	s_add_u32 s8, s36, 0x1000
	s_addc_u32 s9, s37, 0
	s_getpc_b64 s[0:1]
	s_add_u32 s0, s0, _Z50ncclDevFunc_AllReduce_RING_SIMPLE_Sum_f8e4m3_0_0_4v@rel32@lo+4
	s_addc_u32 s1, s1, _Z50ncclDevFunc_AllReduce_RING_SIMPLE_Sum_f8e4m3_0_0_4v@rel32@hi+12
	s_mov_b64 s[4:5], s[48:49]
	s_mov_b64 s[6:7], s[38:39]
	;; [unrolled: 1-line block ×3, first 2 shown]
	s_mov_b32 s12, s55
	s_mov_b32 s13, s54
	;; [unrolled: 1-line block ×3, first 2 shown]
	v_mov_b32_e32 v31, v40
	s_swappc_b64 s[30:31], s[0:1]
	s_mov_b64 s[0:1], 0
.LBB2_359:                              ;   in Loop: Header=BB2_82 Depth=1
	s_andn2_b64 vcc, exec, s[0:1]
	s_cbranch_vccnz .LBB2_361
; %bb.360:                              ;   in Loop: Header=BB2_82 Depth=1
	s_add_u32 s8, s36, 0x1000
	s_addc_u32 s9, s37, 0
	s_getpc_b64 s[0:1]
	s_add_u32 s0, s0, _Z48ncclDevFunc_AllReduce_RING_SIMPLE_Sum_bf16_1_1_4v@rel32@lo+4
	s_addc_u32 s1, s1, _Z48ncclDevFunc_AllReduce_RING_SIMPLE_Sum_bf16_1_1_4v@rel32@hi+12
	s_mov_b64 s[4:5], s[48:49]
	s_mov_b64 s[6:7], s[38:39]
	;; [unrolled: 1-line block ×3, first 2 shown]
	s_mov_b32 s12, s55
	s_mov_b32 s13, s54
	;; [unrolled: 1-line block ×3, first 2 shown]
	v_mov_b32_e32 v31, v40
	s_swappc_b64 s[30:31], s[0:1]
.LBB2_361:                              ;   in Loop: Header=BB2_82 Depth=1
	s_mov_b64 s[0:1], 0
.LBB2_362:                              ;   in Loop: Header=BB2_82 Depth=1
	s_andn2_b64 vcc, exec, s[0:1]
	s_cbranch_vccnz .LBB2_364
; %bb.363:                              ;   in Loop: Header=BB2_82 Depth=1
	s_add_u32 s8, s36, 0x1000
	s_addc_u32 s9, s37, 0
	s_getpc_b64 s[0:1]
	s_add_u32 s0, s0, _Z48ncclDevFunc_AllReduce_RING_SIMPLE_Sum_bf16_1_0_4v@rel32@lo+4
	s_addc_u32 s1, s1, _Z48ncclDevFunc_AllReduce_RING_SIMPLE_Sum_bf16_1_0_4v@rel32@hi+12
	s_mov_b64 s[4:5], s[48:49]
	s_mov_b64 s[6:7], s[38:39]
	;; [unrolled: 1-line block ×3, first 2 shown]
	s_mov_b32 s12, s55
	s_mov_b32 s13, s54
	;; [unrolled: 1-line block ×3, first 2 shown]
	v_mov_b32_e32 v31, v40
	s_swappc_b64 s[30:31], s[0:1]
.LBB2_364:                              ;   in Loop: Header=BB2_82 Depth=1
	s_mov_b64 s[0:1], 0
.LBB2_365:                              ;   in Loop: Header=BB2_82 Depth=1
	s_andn2_b64 vcc, exec, s[0:1]
	s_cbranch_vccnz .LBB2_381
; %bb.366:                              ;   in Loop: Header=BB2_82 Depth=1
	s_cmpk_gt_u32 s81, 0x65
	s_mov_b64 s[0:1], -1
	s_cbranch_scc0 .LBB2_376
; %bb.367:                              ;   in Loop: Header=BB2_82 Depth=1
	s_sext_i32_i16 s0, s80
	s_cmpk_lt_i32 s0, 0x67
	s_mov_b64 s[0:1], -1
	s_cbranch_scc1 .LBB2_373
; %bb.368:                              ;   in Loop: Header=BB2_82 Depth=1
	s_cmpk_lg_i32 s81, 0x67
	s_cbranch_scc0 .LBB2_370
; %bb.369:                              ;   in Loop: Header=BB2_82 Depth=1
	s_add_u32 s8, s36, 0x1000
	s_addc_u32 s9, s37, 0
	s_getpc_b64 s[0:1]
	s_add_u32 s0, s0, _Z48ncclDevFunc_AllReduce_RING_SIMPLE_Sum_bf16_0_1_4v@rel32@lo+4
	s_addc_u32 s1, s1, _Z48ncclDevFunc_AllReduce_RING_SIMPLE_Sum_bf16_0_1_4v@rel32@hi+12
	s_mov_b64 s[4:5], s[48:49]
	s_mov_b64 s[6:7], s[38:39]
	s_mov_b64 s[10:11], s[34:35]
	s_mov_b32 s12, s55
	s_mov_b32 s13, s54
	;; [unrolled: 1-line block ×3, first 2 shown]
	v_mov_b32_e32 v31, v40
	s_swappc_b64 s[30:31], s[0:1]
	s_mov_b64 s[0:1], 0
.LBB2_370:                              ;   in Loop: Header=BB2_82 Depth=1
	s_andn2_b64 vcc, exec, s[0:1]
	s_cbranch_vccnz .LBB2_372
; %bb.371:                              ;   in Loop: Header=BB2_82 Depth=1
	s_add_u32 s8, s36, 0x1000
	s_addc_u32 s9, s37, 0
	s_getpc_b64 s[0:1]
	s_add_u32 s0, s0, _Z48ncclDevFunc_AllReduce_RING_SIMPLE_Sum_bf16_0_0_4v@rel32@lo+4
	s_addc_u32 s1, s1, _Z48ncclDevFunc_AllReduce_RING_SIMPLE_Sum_bf16_0_0_4v@rel32@hi+12
	s_mov_b64 s[4:5], s[48:49]
	s_mov_b64 s[6:7], s[38:39]
	;; [unrolled: 1-line block ×3, first 2 shown]
	s_mov_b32 s12, s55
	s_mov_b32 s13, s54
	;; [unrolled: 1-line block ×3, first 2 shown]
	v_mov_b32_e32 v31, v40
	s_swappc_b64 s[30:31], s[0:1]
.LBB2_372:                              ;   in Loop: Header=BB2_82 Depth=1
	s_mov_b64 s[0:1], 0
.LBB2_373:                              ;   in Loop: Header=BB2_82 Depth=1
	s_andn2_b64 vcc, exec, s[0:1]
	s_cbranch_vccnz .LBB2_375
; %bb.374:                              ;   in Loop: Header=BB2_82 Depth=1
	s_add_u32 s8, s36, 0x1000
	s_addc_u32 s9, s37, 0
	s_getpc_b64 s[0:1]
	s_add_u32 s0, s0, _Z47ncclDevFunc_AllReduce_RING_SIMPLE_Sum_f64_1_0_4v@rel32@lo+4
	s_addc_u32 s1, s1, _Z47ncclDevFunc_AllReduce_RING_SIMPLE_Sum_f64_1_0_4v@rel32@hi+12
	s_mov_b64 s[4:5], s[48:49]
	s_mov_b64 s[6:7], s[38:39]
	;; [unrolled: 1-line block ×3, first 2 shown]
	s_mov_b32 s12, s55
	s_mov_b32 s13, s54
	;; [unrolled: 1-line block ×3, first 2 shown]
	v_mov_b32_e32 v31, v40
	s_swappc_b64 s[30:31], s[0:1]
.LBB2_375:                              ;   in Loop: Header=BB2_82 Depth=1
	s_mov_b64 s[0:1], 0
.LBB2_376:                              ;   in Loop: Header=BB2_82 Depth=1
	s_and_b64 vcc, exec, s[0:1]
	s_cbranch_vccz .LBB2_381
; %bb.377:                              ;   in Loop: Header=BB2_82 Depth=1
	s_cmpk_eq_i32 s81, 0x65
	s_mov_b64 s[0:1], -1
	s_cbranch_scc1 .LBB2_379
; %bb.378:                              ;   in Loop: Header=BB2_82 Depth=1
	s_add_u32 s8, s36, 0x1000
	s_addc_u32 s9, s37, 0
	s_getpc_b64 s[0:1]
	s_add_u32 s0, s0, _Z47ncclDevFunc_AllReduce_RING_SIMPLE_Sum_f32_1_0_4v@rel32@lo+4
	s_addc_u32 s1, s1, _Z47ncclDevFunc_AllReduce_RING_SIMPLE_Sum_f32_1_0_4v@rel32@hi+12
	s_mov_b64 s[4:5], s[48:49]
	s_mov_b64 s[6:7], s[38:39]
	;; [unrolled: 1-line block ×3, first 2 shown]
	s_mov_b32 s12, s55
	s_mov_b32 s13, s54
	;; [unrolled: 1-line block ×3, first 2 shown]
	v_mov_b32_e32 v31, v40
	s_swappc_b64 s[30:31], s[0:1]
	s_mov_b64 s[0:1], 0
.LBB2_379:                              ;   in Loop: Header=BB2_82 Depth=1
	s_andn2_b64 vcc, exec, s[0:1]
	s_cbranch_vccnz .LBB2_381
; %bb.380:                              ;   in Loop: Header=BB2_82 Depth=1
	s_add_u32 s8, s36, 0x1000
	s_addc_u32 s9, s37, 0
	s_getpc_b64 s[0:1]
	s_add_u32 s0, s0, _Z47ncclDevFunc_AllReduce_RING_SIMPLE_Sum_f64_0_0_4v@rel32@lo+4
	s_addc_u32 s1, s1, _Z47ncclDevFunc_AllReduce_RING_SIMPLE_Sum_f64_0_0_4v@rel32@hi+12
	s_mov_b64 s[4:5], s[48:49]
	s_mov_b64 s[6:7], s[38:39]
	;; [unrolled: 1-line block ×3, first 2 shown]
	s_mov_b32 s12, s55
	s_mov_b32 s13, s54
	;; [unrolled: 1-line block ×3, first 2 shown]
	v_mov_b32_e32 v31, v40
	s_swappc_b64 s[30:31], s[0:1]
.LBB2_381:                              ;   in Loop: Header=BB2_82 Depth=1
	s_mov_b64 s[0:1], 0
.LBB2_382:                              ;   in Loop: Header=BB2_82 Depth=1
	s_andn2_b64 vcc, exec, s[0:1]
	s_cbranch_vccnz .LBB2_420
; %bb.383:                              ;   in Loop: Header=BB2_82 Depth=1
	s_cmpk_gt_u32 s81, 0x5d
	s_mov_b64 s[0:1], -1
	s_cbranch_scc0 .LBB2_404
; %bb.384:                              ;   in Loop: Header=BB2_82 Depth=1
	s_cmpk_gt_u32 s81, 0x60
	s_cbranch_scc0 .LBB2_394
; %bb.385:                              ;   in Loop: Header=BB2_82 Depth=1
	s_sext_i32_i16 s0, s80
	s_cmpk_lt_i32 s0, 0x62
	s_mov_b64 s[0:1], -1
	s_cbranch_scc1 .LBB2_391
; %bb.386:                              ;   in Loop: Header=BB2_82 Depth=1
	s_cmpk_lg_i32 s81, 0x62
	s_cbranch_scc0 .LBB2_388
; %bb.387:                              ;   in Loop: Header=BB2_82 Depth=1
	s_add_u32 s8, s36, 0x1000
	s_addc_u32 s9, s37, 0
	s_getpc_b64 s[0:1]
	s_add_u32 s0, s0, _Z47ncclDevFunc_AllReduce_RING_SIMPLE_Sum_f32_0_0_4v@rel32@lo+4
	s_addc_u32 s1, s1, _Z47ncclDevFunc_AllReduce_RING_SIMPLE_Sum_f32_0_0_4v@rel32@hi+12
	s_mov_b64 s[4:5], s[48:49]
	s_mov_b64 s[6:7], s[38:39]
	;; [unrolled: 1-line block ×3, first 2 shown]
	s_mov_b32 s12, s55
	s_mov_b32 s13, s54
	;; [unrolled: 1-line block ×3, first 2 shown]
	v_mov_b32_e32 v31, v40
	s_swappc_b64 s[30:31], s[0:1]
	s_mov_b64 s[0:1], 0
.LBB2_388:                              ;   in Loop: Header=BB2_82 Depth=1
	s_andn2_b64 vcc, exec, s[0:1]
	s_cbranch_vccnz .LBB2_390
; %bb.389:                              ;   in Loop: Header=BB2_82 Depth=1
	s_add_u32 s8, s36, 0x1000
	s_addc_u32 s9, s37, 0
	s_getpc_b64 s[0:1]
	s_add_u32 s0, s0, _Z47ncclDevFunc_AllReduce_RING_SIMPLE_Sum_f16_1_0_4v@rel32@lo+4
	s_addc_u32 s1, s1, _Z47ncclDevFunc_AllReduce_RING_SIMPLE_Sum_f16_1_0_4v@rel32@hi+12
	s_mov_b64 s[4:5], s[48:49]
	s_mov_b64 s[6:7], s[38:39]
	;; [unrolled: 1-line block ×3, first 2 shown]
	s_mov_b32 s12, s55
	s_mov_b32 s13, s54
	;; [unrolled: 1-line block ×3, first 2 shown]
	v_mov_b32_e32 v31, v40
	s_swappc_b64 s[30:31], s[0:1]
.LBB2_390:                              ;   in Loop: Header=BB2_82 Depth=1
	s_mov_b64 s[0:1], 0
.LBB2_391:                              ;   in Loop: Header=BB2_82 Depth=1
	s_andn2_b64 vcc, exec, s[0:1]
	s_cbranch_vccnz .LBB2_393
; %bb.392:                              ;   in Loop: Header=BB2_82 Depth=1
	s_add_u32 s8, s36, 0x1000
	s_addc_u32 s9, s37, 0
	s_getpc_b64 s[0:1]
	s_add_u32 s0, s0, _Z47ncclDevFunc_AllReduce_RING_SIMPLE_Sum_f16_0_0_4v@rel32@lo+4
	s_addc_u32 s1, s1, _Z47ncclDevFunc_AllReduce_RING_SIMPLE_Sum_f16_0_0_4v@rel32@hi+12
	s_mov_b64 s[4:5], s[48:49]
	s_mov_b64 s[6:7], s[38:39]
	;; [unrolled: 1-line block ×3, first 2 shown]
	s_mov_b32 s12, s55
	s_mov_b32 s13, s54
	;; [unrolled: 1-line block ×3, first 2 shown]
	v_mov_b32_e32 v31, v40
	s_swappc_b64 s[30:31], s[0:1]
.LBB2_393:                              ;   in Loop: Header=BB2_82 Depth=1
	s_mov_b64 s[0:1], 0
.LBB2_394:                              ;   in Loop: Header=BB2_82 Depth=1
	s_and_b64 vcc, exec, s[0:1]
	s_cbranch_vccz .LBB2_403
; %bb.395:                              ;   in Loop: Header=BB2_82 Depth=1
	s_sext_i32_i16 s0, s80
	s_cmpk_lt_i32 s0, 0x5f
	s_mov_b64 s[0:1], -1
	s_cbranch_scc1 .LBB2_401
; %bb.396:                              ;   in Loop: Header=BB2_82 Depth=1
	s_cmpk_lg_i32 s81, 0x5f
	s_cbranch_scc0 .LBB2_398
; %bb.397:                              ;   in Loop: Header=BB2_82 Depth=1
	s_add_u32 s8, s36, 0x1000
	s_addc_u32 s9, s37, 0
	s_getpc_b64 s[0:1]
	s_add_u32 s0, s0, _Z47ncclDevFunc_AllReduce_RING_SIMPLE_Sum_u64_1_0_4v@rel32@lo+4
	s_addc_u32 s1, s1, _Z47ncclDevFunc_AllReduce_RING_SIMPLE_Sum_u64_1_0_4v@rel32@hi+12
	s_mov_b64 s[4:5], s[48:49]
	s_mov_b64 s[6:7], s[38:39]
	;; [unrolled: 1-line block ×3, first 2 shown]
	s_mov_b32 s12, s55
	s_mov_b32 s13, s54
	;; [unrolled: 1-line block ×3, first 2 shown]
	v_mov_b32_e32 v31, v40
	s_swappc_b64 s[30:31], s[0:1]
	s_mov_b64 s[0:1], 0
.LBB2_398:                              ;   in Loop: Header=BB2_82 Depth=1
	s_andn2_b64 vcc, exec, s[0:1]
	s_cbranch_vccnz .LBB2_400
; %bb.399:                              ;   in Loop: Header=BB2_82 Depth=1
	s_add_u32 s8, s36, 0x1000
	s_addc_u32 s9, s37, 0
	s_getpc_b64 s[0:1]
	s_add_u32 s0, s0, _Z47ncclDevFunc_AllReduce_RING_SIMPLE_Sum_u64_0_0_4v@rel32@lo+4
	s_addc_u32 s1, s1, _Z47ncclDevFunc_AllReduce_RING_SIMPLE_Sum_u64_0_0_4v@rel32@hi+12
	s_mov_b64 s[4:5], s[48:49]
	s_mov_b64 s[6:7], s[38:39]
	;; [unrolled: 1-line block ×3, first 2 shown]
	s_mov_b32 s12, s55
	s_mov_b32 s13, s54
	s_mov_b32 s14, s33
	v_mov_b32_e32 v31, v40
	s_swappc_b64 s[30:31], s[0:1]
.LBB2_400:                              ;   in Loop: Header=BB2_82 Depth=1
	s_mov_b64 s[0:1], 0
.LBB2_401:                              ;   in Loop: Header=BB2_82 Depth=1
	s_andn2_b64 vcc, exec, s[0:1]
	s_cbranch_vccnz .LBB2_403
; %bb.402:                              ;   in Loop: Header=BB2_82 Depth=1
	s_add_u32 s8, s36, 0x1000
	s_addc_u32 s9, s37, 0
	s_getpc_b64 s[0:1]
	s_add_u32 s0, s0, _Z47ncclDevFunc_AllReduce_RING_SIMPLE_Sum_u32_1_0_4v@rel32@lo+4
	s_addc_u32 s1, s1, _Z47ncclDevFunc_AllReduce_RING_SIMPLE_Sum_u32_1_0_4v@rel32@hi+12
	s_mov_b64 s[4:5], s[48:49]
	s_mov_b64 s[6:7], s[38:39]
	;; [unrolled: 1-line block ×3, first 2 shown]
	s_mov_b32 s12, s55
	s_mov_b32 s13, s54
	;; [unrolled: 1-line block ×3, first 2 shown]
	v_mov_b32_e32 v31, v40
	s_swappc_b64 s[30:31], s[0:1]
.LBB2_403:                              ;   in Loop: Header=BB2_82 Depth=1
	s_mov_b64 s[0:1], 0
.LBB2_404:                              ;   in Loop: Header=BB2_82 Depth=1
	s_andn2_b64 vcc, exec, s[0:1]
	s_cbranch_vccnz .LBB2_420
; %bb.405:                              ;   in Loop: Header=BB2_82 Depth=1
	s_cmpk_gt_u32 s81, 0x5a
	s_mov_b64 s[0:1], -1
	s_cbranch_scc0 .LBB2_415
; %bb.406:                              ;   in Loop: Header=BB2_82 Depth=1
	s_sext_i32_i16 s0, s80
	s_cmpk_lt_i32 s0, 0x5c
	s_mov_b64 s[0:1], -1
	s_cbranch_scc1 .LBB2_412
; %bb.407:                              ;   in Loop: Header=BB2_82 Depth=1
	s_cmpk_lg_i32 s81, 0x5c
	s_cbranch_scc0 .LBB2_409
; %bb.408:                              ;   in Loop: Header=BB2_82 Depth=1
	s_add_u32 s8, s36, 0x1000
	s_addc_u32 s9, s37, 0
	s_getpc_b64 s[0:1]
	s_add_u32 s0, s0, _Z47ncclDevFunc_AllReduce_RING_SIMPLE_Sum_u32_0_0_4v@rel32@lo+4
	s_addc_u32 s1, s1, _Z47ncclDevFunc_AllReduce_RING_SIMPLE_Sum_u32_0_0_4v@rel32@hi+12
	s_mov_b64 s[4:5], s[48:49]
	s_mov_b64 s[6:7], s[38:39]
	;; [unrolled: 1-line block ×3, first 2 shown]
	s_mov_b32 s12, s55
	s_mov_b32 s13, s54
	;; [unrolled: 1-line block ×3, first 2 shown]
	v_mov_b32_e32 v31, v40
	s_swappc_b64 s[30:31], s[0:1]
	s_mov_b64 s[0:1], 0
.LBB2_409:                              ;   in Loop: Header=BB2_82 Depth=1
	s_andn2_b64 vcc, exec, s[0:1]
	s_cbranch_vccnz .LBB2_411
; %bb.410:                              ;   in Loop: Header=BB2_82 Depth=1
	s_add_u32 s8, s36, 0x1000
	s_addc_u32 s9, s37, 0
	s_getpc_b64 s[0:1]
	s_add_u32 s0, s0, _Z46ncclDevFunc_AllReduce_RING_SIMPLE_Sum_u8_1_0_4v@rel32@lo+4
	s_addc_u32 s1, s1, _Z46ncclDevFunc_AllReduce_RING_SIMPLE_Sum_u8_1_0_4v@rel32@hi+12
	s_mov_b64 s[4:5], s[48:49]
	s_mov_b64 s[6:7], s[38:39]
	;; [unrolled: 1-line block ×3, first 2 shown]
	s_mov_b32 s12, s55
	s_mov_b32 s13, s54
	;; [unrolled: 1-line block ×3, first 2 shown]
	v_mov_b32_e32 v31, v40
	s_swappc_b64 s[30:31], s[0:1]
.LBB2_411:                              ;   in Loop: Header=BB2_82 Depth=1
	s_mov_b64 s[0:1], 0
.LBB2_412:                              ;   in Loop: Header=BB2_82 Depth=1
	s_andn2_b64 vcc, exec, s[0:1]
	s_cbranch_vccnz .LBB2_414
; %bb.413:                              ;   in Loop: Header=BB2_82 Depth=1
	s_add_u32 s8, s36, 0x1000
	s_addc_u32 s9, s37, 0
	s_getpc_b64 s[0:1]
	s_add_u32 s0, s0, _Z46ncclDevFunc_AllReduce_RING_SIMPLE_Sum_u8_0_0_4v@rel32@lo+4
	s_addc_u32 s1, s1, _Z46ncclDevFunc_AllReduce_RING_SIMPLE_Sum_u8_0_0_4v@rel32@hi+12
	s_mov_b64 s[4:5], s[48:49]
	s_mov_b64 s[6:7], s[38:39]
	;; [unrolled: 1-line block ×3, first 2 shown]
	s_mov_b32 s12, s55
	s_mov_b32 s13, s54
	s_mov_b32 s14, s33
	v_mov_b32_e32 v31, v40
	s_swappc_b64 s[30:31], s[0:1]
.LBB2_414:                              ;   in Loop: Header=BB2_82 Depth=1
	s_mov_b64 s[0:1], 0
.LBB2_415:                              ;   in Loop: Header=BB2_82 Depth=1
	s_and_b64 vcc, exec, s[0:1]
	s_cbranch_vccz .LBB2_420
; %bb.416:                              ;   in Loop: Header=BB2_82 Depth=1
	s_cmpk_eq_i32 s81, 0x5a
	s_mov_b64 s[0:1], -1
	s_cbranch_scc1 .LBB2_418
; %bb.417:                              ;   in Loop: Header=BB2_82 Depth=1
	s_add_u32 s8, s36, 0x1000
	s_addc_u32 s9, s37, 0
	s_getpc_b64 s[0:1]
	s_add_u32 s0, s0, _Z54ncclDevFunc_ReduceScatter_RING_LL_SumPostDiv_u32_0_0_4v@rel32@lo+4
	s_addc_u32 s1, s1, _Z54ncclDevFunc_ReduceScatter_RING_LL_SumPostDiv_u32_0_0_4v@rel32@hi+12
	s_mov_b64 s[4:5], s[48:49]
	s_mov_b64 s[6:7], s[38:39]
	;; [unrolled: 1-line block ×3, first 2 shown]
	s_mov_b32 s12, s55
	s_mov_b32 s13, s54
	;; [unrolled: 1-line block ×3, first 2 shown]
	v_mov_b32_e32 v31, v40
	s_swappc_b64 s[30:31], s[0:1]
	s_mov_b64 s[0:1], 0
.LBB2_418:                              ;   in Loop: Header=BB2_82 Depth=1
	s_andn2_b64 vcc, exec, s[0:1]
	s_cbranch_vccnz .LBB2_420
; %bb.419:                              ;   in Loop: Header=BB2_82 Depth=1
	s_add_u32 s8, s36, 0x1000
	s_addc_u32 s9, s37, 0
	s_getpc_b64 s[0:1]
	s_add_u32 s0, s0, _Z54ncclDevFunc_ReduceScatter_RING_LL_SumPostDiv_u64_0_0_4v@rel32@lo+4
	s_addc_u32 s1, s1, _Z54ncclDevFunc_ReduceScatter_RING_LL_SumPostDiv_u64_0_0_4v@rel32@hi+12
	s_mov_b64 s[4:5], s[48:49]
	s_mov_b64 s[6:7], s[38:39]
	;; [unrolled: 1-line block ×3, first 2 shown]
	s_mov_b32 s12, s55
	s_mov_b32 s13, s54
	;; [unrolled: 1-line block ×3, first 2 shown]
	v_mov_b32_e32 v31, v40
	s_swappc_b64 s[30:31], s[0:1]
.LBB2_420:                              ;   in Loop: Header=BB2_82 Depth=1
	s_mov_b64 s[0:1], 0
.LBB2_421:                              ;   in Loop: Header=BB2_82 Depth=1
	s_andn2_b64 vcc, exec, s[0:1]
	s_cbranch_vccnz .LBB2_732
; %bb.422:                              ;   in Loop: Header=BB2_82 Depth=1
	s_and_b32 s66, 0xffff, s80
	s_cmp_gt_u32 s66, 43
	s_mov_b64 s[0:1], -1
	s_cbranch_scc0 .LBB2_577
; %bb.423:                              ;   in Loop: Header=BB2_82 Depth=1
	s_cmpk_gt_u32 s66, 0x41
	s_cbranch_scc0 .LBB2_506
; %bb.424:                              ;   in Loop: Header=BB2_82 Depth=1
	s_cmpk_gt_u32 s66, 0x4c
	;; [unrolled: 3-line block ×4, first 2 shown]
	s_cbranch_scc0 .LBB2_436
; %bb.427:                              ;   in Loop: Header=BB2_82 Depth=1
	s_sext_i32_i16 s0, s80
	s_cmpk_lt_i32 s0, 0x57
	s_mov_b64 s[0:1], -1
	s_cbranch_scc1 .LBB2_433
; %bb.428:                              ;   in Loop: Header=BB2_82 Depth=1
	s_cmpk_lg_i32 s66, 0x57
	s_cbranch_scc0 .LBB2_430
; %bb.429:                              ;   in Loop: Header=BB2_82 Depth=1
	s_add_u32 s8, s36, 0x1000
	s_addc_u32 s9, s37, 0
	s_getpc_b64 s[0:1]
	s_add_u32 s0, s0, _Z53ncclDevFunc_ReduceScatter_RING_LL_SumPostDiv_u8_0_0_4v@rel32@lo+4
	s_addc_u32 s1, s1, _Z53ncclDevFunc_ReduceScatter_RING_LL_SumPostDiv_u8_0_0_4v@rel32@hi+12
	s_mov_b64 s[4:5], s[48:49]
	s_mov_b64 s[6:7], s[38:39]
	;; [unrolled: 1-line block ×3, first 2 shown]
	s_mov_b32 s12, s55
	s_mov_b32 s13, s54
	;; [unrolled: 1-line block ×3, first 2 shown]
	v_mov_b32_e32 v31, v40
	s_swappc_b64 s[30:31], s[0:1]
	s_mov_b64 s[0:1], 0
.LBB2_430:                              ;   in Loop: Header=BB2_82 Depth=1
	s_andn2_b64 vcc, exec, s[0:1]
	s_cbranch_vccnz .LBB2_432
; %bb.431:                              ;   in Loop: Header=BB2_82 Depth=1
	s_add_u32 s8, s36, 0x1000
	s_addc_u32 s9, s37, 0
	s_getpc_b64 s[0:1]
	s_add_u32 s0, s0, _Z56ncclDevFunc_ReduceScatter_RING_LL_PreMulSum_f8e5m2_0_0_4v@rel32@lo+4
	s_addc_u32 s1, s1, _Z56ncclDevFunc_ReduceScatter_RING_LL_PreMulSum_f8e5m2_0_0_4v@rel32@hi+12
	s_mov_b64 s[4:5], s[48:49]
	s_mov_b64 s[6:7], s[38:39]
	;; [unrolled: 1-line block ×3, first 2 shown]
	s_mov_b32 s12, s55
	s_mov_b32 s13, s54
	;; [unrolled: 1-line block ×3, first 2 shown]
	v_mov_b32_e32 v31, v40
	s_swappc_b64 s[30:31], s[0:1]
.LBB2_432:                              ;   in Loop: Header=BB2_82 Depth=1
	s_mov_b64 s[0:1], 0
.LBB2_433:                              ;   in Loop: Header=BB2_82 Depth=1
	s_andn2_b64 vcc, exec, s[0:1]
	s_cbranch_vccnz .LBB2_435
; %bb.434:                              ;   in Loop: Header=BB2_82 Depth=1
	s_add_u32 s8, s36, 0x1000
	s_addc_u32 s9, s37, 0
	s_getpc_b64 s[0:1]
	s_add_u32 s0, s0, _Z56ncclDevFunc_ReduceScatter_RING_LL_PreMulSum_f8e4m3_0_0_4v@rel32@lo+4
	s_addc_u32 s1, s1, _Z56ncclDevFunc_ReduceScatter_RING_LL_PreMulSum_f8e4m3_0_0_4v@rel32@hi+12
	s_mov_b64 s[4:5], s[48:49]
	s_mov_b64 s[6:7], s[38:39]
	;; [unrolled: 1-line block ×3, first 2 shown]
	s_mov_b32 s12, s55
	s_mov_b32 s13, s54
	;; [unrolled: 1-line block ×3, first 2 shown]
	v_mov_b32_e32 v31, v40
	s_swappc_b64 s[30:31], s[0:1]
.LBB2_435:                              ;   in Loop: Header=BB2_82 Depth=1
	s_mov_b64 s[0:1], 0
.LBB2_436:                              ;   in Loop: Header=BB2_82 Depth=1
	s_and_b64 vcc, exec, s[0:1]
	s_cbranch_vccz .LBB2_445
; %bb.437:                              ;   in Loop: Header=BB2_82 Depth=1
	s_sext_i32_i16 s0, s80
	s_cmpk_lt_i32 s0, 0x54
	s_mov_b64 s[0:1], -1
	s_cbranch_scc1 .LBB2_443
; %bb.438:                              ;   in Loop: Header=BB2_82 Depth=1
	s_cmpk_lg_i32 s66, 0x54
	s_cbranch_scc0 .LBB2_440
; %bb.439:                              ;   in Loop: Header=BB2_82 Depth=1
	s_add_u32 s8, s36, 0x1000
	s_addc_u32 s9, s37, 0
	s_getpc_b64 s[0:1]
	s_add_u32 s0, s0, _Z54ncclDevFunc_ReduceScatter_RING_LL_PreMulSum_bf16_0_0_4v@rel32@lo+4
	s_addc_u32 s1, s1, _Z54ncclDevFunc_ReduceScatter_RING_LL_PreMulSum_bf16_0_0_4v@rel32@hi+12
	s_mov_b64 s[4:5], s[48:49]
	s_mov_b64 s[6:7], s[38:39]
	;; [unrolled: 1-line block ×3, first 2 shown]
	s_mov_b32 s12, s55
	s_mov_b32 s13, s54
	;; [unrolled: 1-line block ×3, first 2 shown]
	v_mov_b32_e32 v31, v40
	s_swappc_b64 s[30:31], s[0:1]
	s_mov_b64 s[0:1], 0
.LBB2_440:                              ;   in Loop: Header=BB2_82 Depth=1
	s_andn2_b64 vcc, exec, s[0:1]
	s_cbranch_vccnz .LBB2_442
; %bb.441:                              ;   in Loop: Header=BB2_82 Depth=1
	s_add_u32 s8, s36, 0x1000
	s_addc_u32 s9, s37, 0
	s_getpc_b64 s[0:1]
	s_add_u32 s0, s0, _Z53ncclDevFunc_ReduceScatter_RING_LL_PreMulSum_f64_0_0_4v@rel32@lo+4
	s_addc_u32 s1, s1, _Z53ncclDevFunc_ReduceScatter_RING_LL_PreMulSum_f64_0_0_4v@rel32@hi+12
	s_mov_b64 s[4:5], s[48:49]
	s_mov_b64 s[6:7], s[38:39]
	;; [unrolled: 1-line block ×3, first 2 shown]
	s_mov_b32 s12, s55
	s_mov_b32 s13, s54
	;; [unrolled: 1-line block ×3, first 2 shown]
	v_mov_b32_e32 v31, v40
	s_swappc_b64 s[30:31], s[0:1]
.LBB2_442:                              ;   in Loop: Header=BB2_82 Depth=1
	s_mov_b64 s[0:1], 0
.LBB2_443:                              ;   in Loop: Header=BB2_82 Depth=1
	s_andn2_b64 vcc, exec, s[0:1]
	s_cbranch_vccnz .LBB2_445
; %bb.444:                              ;   in Loop: Header=BB2_82 Depth=1
	s_add_u32 s8, s36, 0x1000
	s_addc_u32 s9, s37, 0
	s_getpc_b64 s[0:1]
	s_add_u32 s0, s0, _Z53ncclDevFunc_ReduceScatter_RING_LL_PreMulSum_f32_0_0_4v@rel32@lo+4
	s_addc_u32 s1, s1, _Z53ncclDevFunc_ReduceScatter_RING_LL_PreMulSum_f32_0_0_4v@rel32@hi+12
	s_mov_b64 s[4:5], s[48:49]
	s_mov_b64 s[6:7], s[38:39]
	s_mov_b64 s[10:11], s[34:35]
	s_mov_b32 s12, s55
	s_mov_b32 s13, s54
	;; [unrolled: 1-line block ×3, first 2 shown]
	v_mov_b32_e32 v31, v40
	s_swappc_b64 s[30:31], s[0:1]
.LBB2_445:                              ;   in Loop: Header=BB2_82 Depth=1
	s_mov_b64 s[0:1], 0
.LBB2_446:                              ;   in Loop: Header=BB2_82 Depth=1
	s_andn2_b64 vcc, exec, s[0:1]
	s_cbranch_vccnz .LBB2_466
; %bb.447:                              ;   in Loop: Header=BB2_82 Depth=1
	s_cmpk_gt_u32 s66, 0x4f
	s_mov_b64 s[0:1], -1
	s_cbranch_scc0 .LBB2_457
; %bb.448:                              ;   in Loop: Header=BB2_82 Depth=1
	s_sext_i32_i16 s0, s80
	s_cmpk_lt_i32 s0, 0x51
	s_mov_b64 s[0:1], -1
	s_cbranch_scc1 .LBB2_454
; %bb.449:                              ;   in Loop: Header=BB2_82 Depth=1
	s_cmpk_lg_i32 s66, 0x51
	s_cbranch_scc0 .LBB2_451
; %bb.450:                              ;   in Loop: Header=BB2_82 Depth=1
	s_add_u32 s8, s36, 0x1000
	s_addc_u32 s9, s37, 0
	s_getpc_b64 s[0:1]
	s_add_u32 s0, s0, _Z53ncclDevFunc_ReduceScatter_RING_LL_PreMulSum_f16_0_0_4v@rel32@lo+4
	s_addc_u32 s1, s1, _Z53ncclDevFunc_ReduceScatter_RING_LL_PreMulSum_f16_0_0_4v@rel32@hi+12
	s_mov_b64 s[4:5], s[48:49]
	s_mov_b64 s[6:7], s[38:39]
	;; [unrolled: 1-line block ×3, first 2 shown]
	s_mov_b32 s12, s55
	s_mov_b32 s13, s54
	;; [unrolled: 1-line block ×3, first 2 shown]
	v_mov_b32_e32 v31, v40
	s_swappc_b64 s[30:31], s[0:1]
	s_mov_b64 s[0:1], 0
.LBB2_451:                              ;   in Loop: Header=BB2_82 Depth=1
	s_andn2_b64 vcc, exec, s[0:1]
	s_cbranch_vccnz .LBB2_453
; %bb.452:                              ;   in Loop: Header=BB2_82 Depth=1
	s_add_u32 s8, s36, 0x1000
	s_addc_u32 s9, s37, 0
	s_getpc_b64 s[0:1]
	s_add_u32 s0, s0, _Z53ncclDevFunc_ReduceScatter_RING_LL_PreMulSum_u64_0_0_4v@rel32@lo+4
	s_addc_u32 s1, s1, _Z53ncclDevFunc_ReduceScatter_RING_LL_PreMulSum_u64_0_0_4v@rel32@hi+12
	s_mov_b64 s[4:5], s[48:49]
	s_mov_b64 s[6:7], s[38:39]
	;; [unrolled: 1-line block ×3, first 2 shown]
	s_mov_b32 s12, s55
	s_mov_b32 s13, s54
	;; [unrolled: 1-line block ×3, first 2 shown]
	v_mov_b32_e32 v31, v40
	s_swappc_b64 s[30:31], s[0:1]
.LBB2_453:                              ;   in Loop: Header=BB2_82 Depth=1
	s_mov_b64 s[0:1], 0
.LBB2_454:                              ;   in Loop: Header=BB2_82 Depth=1
	s_andn2_b64 vcc, exec, s[0:1]
	s_cbranch_vccnz .LBB2_456
; %bb.455:                              ;   in Loop: Header=BB2_82 Depth=1
	s_add_u32 s8, s36, 0x1000
	s_addc_u32 s9, s37, 0
	s_getpc_b64 s[0:1]
	s_add_u32 s0, s0, _Z53ncclDevFunc_ReduceScatter_RING_LL_PreMulSum_u32_0_0_4v@rel32@lo+4
	s_addc_u32 s1, s1, _Z53ncclDevFunc_ReduceScatter_RING_LL_PreMulSum_u32_0_0_4v@rel32@hi+12
	s_mov_b64 s[4:5], s[48:49]
	s_mov_b64 s[6:7], s[38:39]
	;; [unrolled: 1-line block ×3, first 2 shown]
	s_mov_b32 s12, s55
	s_mov_b32 s13, s54
	;; [unrolled: 1-line block ×3, first 2 shown]
	v_mov_b32_e32 v31, v40
	s_swappc_b64 s[30:31], s[0:1]
.LBB2_456:                              ;   in Loop: Header=BB2_82 Depth=1
	s_mov_b64 s[0:1], 0
.LBB2_457:                              ;   in Loop: Header=BB2_82 Depth=1
	s_and_b64 vcc, exec, s[0:1]
	s_cbranch_vccz .LBB2_466
; %bb.458:                              ;   in Loop: Header=BB2_82 Depth=1
	s_sext_i32_i16 s0, s80
	s_cmpk_lt_i32 s0, 0x4e
	s_mov_b64 s[0:1], -1
	s_cbranch_scc1 .LBB2_464
; %bb.459:                              ;   in Loop: Header=BB2_82 Depth=1
	s_cmpk_lg_i32 s66, 0x4e
	s_cbranch_scc0 .LBB2_461
; %bb.460:                              ;   in Loop: Header=BB2_82 Depth=1
	s_add_u32 s8, s36, 0x1000
	s_addc_u32 s9, s37, 0
	s_getpc_b64 s[0:1]
	s_add_u32 s0, s0, _Z52ncclDevFunc_ReduceScatter_RING_LL_PreMulSum_u8_0_0_4v@rel32@lo+4
	s_addc_u32 s1, s1, _Z52ncclDevFunc_ReduceScatter_RING_LL_PreMulSum_u8_0_0_4v@rel32@hi+12
	s_mov_b64 s[4:5], s[48:49]
	s_mov_b64 s[6:7], s[38:39]
	;; [unrolled: 1-line block ×3, first 2 shown]
	s_mov_b32 s12, s55
	s_mov_b32 s13, s54
	;; [unrolled: 1-line block ×3, first 2 shown]
	v_mov_b32_e32 v31, v40
	s_swappc_b64 s[30:31], s[0:1]
	s_mov_b64 s[0:1], 0
.LBB2_461:                              ;   in Loop: Header=BB2_82 Depth=1
	s_andn2_b64 vcc, exec, s[0:1]
	s_cbranch_vccnz .LBB2_463
; %bb.462:                              ;   in Loop: Header=BB2_82 Depth=1
	s_add_u32 s8, s36, 0x1000
	s_addc_u32 s9, s37, 0
	s_getpc_b64 s[0:1]
	s_add_u32 s0, s0, _Z53ncclDevFunc_ReduceScatter_RING_LL_MinMax_f8e5m2_0_0_4v@rel32@lo+4
	s_addc_u32 s1, s1, _Z53ncclDevFunc_ReduceScatter_RING_LL_MinMax_f8e5m2_0_0_4v@rel32@hi+12
	s_mov_b64 s[4:5], s[48:49]
	s_mov_b64 s[6:7], s[38:39]
	;; [unrolled: 1-line block ×3, first 2 shown]
	s_mov_b32 s12, s55
	s_mov_b32 s13, s54
	;; [unrolled: 1-line block ×3, first 2 shown]
	v_mov_b32_e32 v31, v40
	s_swappc_b64 s[30:31], s[0:1]
.LBB2_463:                              ;   in Loop: Header=BB2_82 Depth=1
	s_mov_b64 s[0:1], 0
.LBB2_464:                              ;   in Loop: Header=BB2_82 Depth=1
	s_andn2_b64 vcc, exec, s[0:1]
	s_cbranch_vccnz .LBB2_466
; %bb.465:                              ;   in Loop: Header=BB2_82 Depth=1
	s_add_u32 s8, s36, 0x1000
	s_addc_u32 s9, s37, 0
	s_getpc_b64 s[0:1]
	s_add_u32 s0, s0, _Z53ncclDevFunc_ReduceScatter_RING_LL_MinMax_f8e4m3_0_0_4v@rel32@lo+4
	s_addc_u32 s1, s1, _Z53ncclDevFunc_ReduceScatter_RING_LL_MinMax_f8e4m3_0_0_4v@rel32@hi+12
	s_mov_b64 s[4:5], s[48:49]
	s_mov_b64 s[6:7], s[38:39]
	;; [unrolled: 1-line block ×3, first 2 shown]
	s_mov_b32 s12, s55
	s_mov_b32 s13, s54
	;; [unrolled: 1-line block ×3, first 2 shown]
	v_mov_b32_e32 v31, v40
	s_swappc_b64 s[30:31], s[0:1]
.LBB2_466:                              ;   in Loop: Header=BB2_82 Depth=1
	s_mov_b64 s[0:1], 0
.LBB2_467:                              ;   in Loop: Header=BB2_82 Depth=1
	s_andn2_b64 vcc, exec, s[0:1]
	s_cbranch_vccnz .LBB2_505
; %bb.468:                              ;   in Loop: Header=BB2_82 Depth=1
	s_cmpk_gt_u32 s66, 0x46
	s_mov_b64 s[0:1], -1
	s_cbranch_scc0 .LBB2_489
; %bb.469:                              ;   in Loop: Header=BB2_82 Depth=1
	s_cmpk_gt_u32 s66, 0x49
	s_cbranch_scc0 .LBB2_479
; %bb.470:                              ;   in Loop: Header=BB2_82 Depth=1
	s_sext_i32_i16 s0, s80
	s_cmpk_lt_i32 s0, 0x4b
	s_mov_b64 s[0:1], -1
	s_cbranch_scc1 .LBB2_476
; %bb.471:                              ;   in Loop: Header=BB2_82 Depth=1
	s_cmpk_lg_i32 s66, 0x4b
	s_cbranch_scc0 .LBB2_473
; %bb.472:                              ;   in Loop: Header=BB2_82 Depth=1
	s_add_u32 s8, s36, 0x1000
	s_addc_u32 s9, s37, 0
	s_getpc_b64 s[0:1]
	s_add_u32 s0, s0, _Z51ncclDevFunc_ReduceScatter_RING_LL_MinMax_bf16_0_0_4v@rel32@lo+4
	s_addc_u32 s1, s1, _Z51ncclDevFunc_ReduceScatter_RING_LL_MinMax_bf16_0_0_4v@rel32@hi+12
	s_mov_b64 s[4:5], s[48:49]
	s_mov_b64 s[6:7], s[38:39]
	;; [unrolled: 1-line block ×3, first 2 shown]
	s_mov_b32 s12, s55
	s_mov_b32 s13, s54
	s_mov_b32 s14, s33
	v_mov_b32_e32 v31, v40
	s_swappc_b64 s[30:31], s[0:1]
	s_mov_b64 s[0:1], 0
.LBB2_473:                              ;   in Loop: Header=BB2_82 Depth=1
	s_andn2_b64 vcc, exec, s[0:1]
	s_cbranch_vccnz .LBB2_475
; %bb.474:                              ;   in Loop: Header=BB2_82 Depth=1
	s_add_u32 s8, s36, 0x1000
	s_addc_u32 s9, s37, 0
	s_getpc_b64 s[0:1]
	s_add_u32 s0, s0, _Z50ncclDevFunc_ReduceScatter_RING_LL_MinMax_f64_0_0_4v@rel32@lo+4
	s_addc_u32 s1, s1, _Z50ncclDevFunc_ReduceScatter_RING_LL_MinMax_f64_0_0_4v@rel32@hi+12
	s_mov_b64 s[4:5], s[48:49]
	s_mov_b64 s[6:7], s[38:39]
	;; [unrolled: 1-line block ×3, first 2 shown]
	s_mov_b32 s12, s55
	s_mov_b32 s13, s54
	;; [unrolled: 1-line block ×3, first 2 shown]
	v_mov_b32_e32 v31, v40
	s_swappc_b64 s[30:31], s[0:1]
.LBB2_475:                              ;   in Loop: Header=BB2_82 Depth=1
	s_mov_b64 s[0:1], 0
.LBB2_476:                              ;   in Loop: Header=BB2_82 Depth=1
	s_andn2_b64 vcc, exec, s[0:1]
	s_cbranch_vccnz .LBB2_478
; %bb.477:                              ;   in Loop: Header=BB2_82 Depth=1
	s_add_u32 s8, s36, 0x1000
	s_addc_u32 s9, s37, 0
	s_getpc_b64 s[0:1]
	s_add_u32 s0, s0, _Z50ncclDevFunc_ReduceScatter_RING_LL_MinMax_f32_0_0_4v@rel32@lo+4
	s_addc_u32 s1, s1, _Z50ncclDevFunc_ReduceScatter_RING_LL_MinMax_f32_0_0_4v@rel32@hi+12
	s_mov_b64 s[4:5], s[48:49]
	s_mov_b64 s[6:7], s[38:39]
	;; [unrolled: 1-line block ×3, first 2 shown]
	s_mov_b32 s12, s55
	s_mov_b32 s13, s54
	s_mov_b32 s14, s33
	v_mov_b32_e32 v31, v40
	s_swappc_b64 s[30:31], s[0:1]
.LBB2_478:                              ;   in Loop: Header=BB2_82 Depth=1
	s_mov_b64 s[0:1], 0
.LBB2_479:                              ;   in Loop: Header=BB2_82 Depth=1
	s_and_b64 vcc, exec, s[0:1]
	s_cbranch_vccz .LBB2_488
; %bb.480:                              ;   in Loop: Header=BB2_82 Depth=1
	s_sext_i32_i16 s0, s80
	s_cmpk_lt_i32 s0, 0x48
	s_mov_b64 s[0:1], -1
	s_cbranch_scc1 .LBB2_486
; %bb.481:                              ;   in Loop: Header=BB2_82 Depth=1
	s_cmpk_lg_i32 s66, 0x48
	s_cbranch_scc0 .LBB2_483
; %bb.482:                              ;   in Loop: Header=BB2_82 Depth=1
	s_add_u32 s8, s36, 0x1000
	s_addc_u32 s9, s37, 0
	s_getpc_b64 s[0:1]
	s_add_u32 s0, s0, _Z50ncclDevFunc_ReduceScatter_RING_LL_MinMax_f16_0_0_4v@rel32@lo+4
	s_addc_u32 s1, s1, _Z50ncclDevFunc_ReduceScatter_RING_LL_MinMax_f16_0_0_4v@rel32@hi+12
	s_mov_b64 s[4:5], s[48:49]
	s_mov_b64 s[6:7], s[38:39]
	;; [unrolled: 1-line block ×3, first 2 shown]
	s_mov_b32 s12, s55
	s_mov_b32 s13, s54
	;; [unrolled: 1-line block ×3, first 2 shown]
	v_mov_b32_e32 v31, v40
	s_swappc_b64 s[30:31], s[0:1]
	s_mov_b64 s[0:1], 0
.LBB2_483:                              ;   in Loop: Header=BB2_82 Depth=1
	s_andn2_b64 vcc, exec, s[0:1]
	s_cbranch_vccnz .LBB2_485
; %bb.484:                              ;   in Loop: Header=BB2_82 Depth=1
	s_add_u32 s8, s36, 0x1000
	s_addc_u32 s9, s37, 0
	s_getpc_b64 s[0:1]
	s_add_u32 s0, s0, _Z50ncclDevFunc_ReduceScatter_RING_LL_MinMax_u64_0_0_4v@rel32@lo+4
	s_addc_u32 s1, s1, _Z50ncclDevFunc_ReduceScatter_RING_LL_MinMax_u64_0_0_4v@rel32@hi+12
	s_mov_b64 s[4:5], s[48:49]
	s_mov_b64 s[6:7], s[38:39]
	;; [unrolled: 1-line block ×3, first 2 shown]
	s_mov_b32 s12, s55
	s_mov_b32 s13, s54
	;; [unrolled: 1-line block ×3, first 2 shown]
	v_mov_b32_e32 v31, v40
	s_swappc_b64 s[30:31], s[0:1]
.LBB2_485:                              ;   in Loop: Header=BB2_82 Depth=1
	s_mov_b64 s[0:1], 0
.LBB2_486:                              ;   in Loop: Header=BB2_82 Depth=1
	s_andn2_b64 vcc, exec, s[0:1]
	s_cbranch_vccnz .LBB2_488
; %bb.487:                              ;   in Loop: Header=BB2_82 Depth=1
	s_add_u32 s8, s36, 0x1000
	s_addc_u32 s9, s37, 0
	s_getpc_b64 s[0:1]
	s_add_u32 s0, s0, _Z50ncclDevFunc_ReduceScatter_RING_LL_MinMax_u32_0_0_4v@rel32@lo+4
	s_addc_u32 s1, s1, _Z50ncclDevFunc_ReduceScatter_RING_LL_MinMax_u32_0_0_4v@rel32@hi+12
	s_mov_b64 s[4:5], s[48:49]
	s_mov_b64 s[6:7], s[38:39]
	;; [unrolled: 1-line block ×3, first 2 shown]
	s_mov_b32 s12, s55
	s_mov_b32 s13, s54
	;; [unrolled: 1-line block ×3, first 2 shown]
	v_mov_b32_e32 v31, v40
	s_swappc_b64 s[30:31], s[0:1]
.LBB2_488:                              ;   in Loop: Header=BB2_82 Depth=1
	s_mov_b64 s[0:1], 0
.LBB2_489:                              ;   in Loop: Header=BB2_82 Depth=1
	s_andn2_b64 vcc, exec, s[0:1]
	s_cbranch_vccnz .LBB2_505
; %bb.490:                              ;   in Loop: Header=BB2_82 Depth=1
	s_cmpk_gt_u32 s66, 0x43
	s_mov_b64 s[0:1], -1
	s_cbranch_scc0 .LBB2_500
; %bb.491:                              ;   in Loop: Header=BB2_82 Depth=1
	s_sext_i32_i16 s0, s80
	s_cmpk_lt_i32 s0, 0x45
	s_mov_b64 s[0:1], -1
	s_cbranch_scc1 .LBB2_497
; %bb.492:                              ;   in Loop: Header=BB2_82 Depth=1
	s_cmpk_lg_i32 s66, 0x45
	s_cbranch_scc0 .LBB2_494
; %bb.493:                              ;   in Loop: Header=BB2_82 Depth=1
	s_add_u32 s8, s36, 0x1000
	s_addc_u32 s9, s37, 0
	s_getpc_b64 s[0:1]
	s_add_u32 s0, s0, _Z49ncclDevFunc_ReduceScatter_RING_LL_MinMax_u8_0_0_4v@rel32@lo+4
	s_addc_u32 s1, s1, _Z49ncclDevFunc_ReduceScatter_RING_LL_MinMax_u8_0_0_4v@rel32@hi+12
	s_mov_b64 s[4:5], s[48:49]
	s_mov_b64 s[6:7], s[38:39]
	;; [unrolled: 1-line block ×3, first 2 shown]
	s_mov_b32 s12, s55
	s_mov_b32 s13, s54
	;; [unrolled: 1-line block ×3, first 2 shown]
	v_mov_b32_e32 v31, v40
	s_swappc_b64 s[30:31], s[0:1]
	s_mov_b64 s[0:1], 0
.LBB2_494:                              ;   in Loop: Header=BB2_82 Depth=1
	s_andn2_b64 vcc, exec, s[0:1]
	s_cbranch_vccnz .LBB2_496
; %bb.495:                              ;   in Loop: Header=BB2_82 Depth=1
	s_add_u32 s8, s36, 0x1000
	s_addc_u32 s9, s37, 0
	s_getpc_b64 s[0:1]
	s_add_u32 s0, s0, _Z51ncclDevFunc_ReduceScatter_RING_LL_Prod_f8e5m2_0_0_4v@rel32@lo+4
	s_addc_u32 s1, s1, _Z51ncclDevFunc_ReduceScatter_RING_LL_Prod_f8e5m2_0_0_4v@rel32@hi+12
	s_mov_b64 s[4:5], s[48:49]
	s_mov_b64 s[6:7], s[38:39]
	;; [unrolled: 1-line block ×3, first 2 shown]
	s_mov_b32 s12, s55
	s_mov_b32 s13, s54
	;; [unrolled: 1-line block ×3, first 2 shown]
	v_mov_b32_e32 v31, v40
	s_swappc_b64 s[30:31], s[0:1]
.LBB2_496:                              ;   in Loop: Header=BB2_82 Depth=1
	s_mov_b64 s[0:1], 0
.LBB2_497:                              ;   in Loop: Header=BB2_82 Depth=1
	s_andn2_b64 vcc, exec, s[0:1]
	s_cbranch_vccnz .LBB2_499
; %bb.498:                              ;   in Loop: Header=BB2_82 Depth=1
	s_add_u32 s8, s36, 0x1000
	s_addc_u32 s9, s37, 0
	s_getpc_b64 s[0:1]
	s_add_u32 s0, s0, _Z51ncclDevFunc_ReduceScatter_RING_LL_Prod_f8e4m3_0_0_4v@rel32@lo+4
	s_addc_u32 s1, s1, _Z51ncclDevFunc_ReduceScatter_RING_LL_Prod_f8e4m3_0_0_4v@rel32@hi+12
	s_mov_b64 s[4:5], s[48:49]
	s_mov_b64 s[6:7], s[38:39]
	;; [unrolled: 1-line block ×3, first 2 shown]
	s_mov_b32 s12, s55
	s_mov_b32 s13, s54
	;; [unrolled: 1-line block ×3, first 2 shown]
	v_mov_b32_e32 v31, v40
	s_swappc_b64 s[30:31], s[0:1]
.LBB2_499:                              ;   in Loop: Header=BB2_82 Depth=1
	s_mov_b64 s[0:1], 0
.LBB2_500:                              ;   in Loop: Header=BB2_82 Depth=1
	s_and_b64 vcc, exec, s[0:1]
	s_cbranch_vccz .LBB2_505
; %bb.501:                              ;   in Loop: Header=BB2_82 Depth=1
	s_cmpk_eq_i32 s66, 0x43
	s_mov_b64 s[0:1], -1
	s_cbranch_scc1 .LBB2_503
; %bb.502:                              ;   in Loop: Header=BB2_82 Depth=1
	s_add_u32 s8, s36, 0x1000
	s_addc_u32 s9, s37, 0
	s_getpc_b64 s[0:1]
	s_add_u32 s0, s0, _Z48ncclDevFunc_ReduceScatter_RING_LL_Prod_f64_0_0_4v@rel32@lo+4
	s_addc_u32 s1, s1, _Z48ncclDevFunc_ReduceScatter_RING_LL_Prod_f64_0_0_4v@rel32@hi+12
	s_mov_b64 s[4:5], s[48:49]
	s_mov_b64 s[6:7], s[38:39]
	;; [unrolled: 1-line block ×3, first 2 shown]
	s_mov_b32 s12, s55
	s_mov_b32 s13, s54
	;; [unrolled: 1-line block ×3, first 2 shown]
	v_mov_b32_e32 v31, v40
	s_swappc_b64 s[30:31], s[0:1]
	s_mov_b64 s[0:1], 0
.LBB2_503:                              ;   in Loop: Header=BB2_82 Depth=1
	s_andn2_b64 vcc, exec, s[0:1]
	s_cbranch_vccnz .LBB2_505
; %bb.504:                              ;   in Loop: Header=BB2_82 Depth=1
	s_add_u32 s8, s36, 0x1000
	s_addc_u32 s9, s37, 0
	s_getpc_b64 s[0:1]
	s_add_u32 s0, s0, _Z49ncclDevFunc_ReduceScatter_RING_LL_Prod_bf16_0_0_4v@rel32@lo+4
	s_addc_u32 s1, s1, _Z49ncclDevFunc_ReduceScatter_RING_LL_Prod_bf16_0_0_4v@rel32@hi+12
	s_mov_b64 s[4:5], s[48:49]
	s_mov_b64 s[6:7], s[38:39]
	;; [unrolled: 1-line block ×3, first 2 shown]
	s_mov_b32 s12, s55
	s_mov_b32 s13, s54
	;; [unrolled: 1-line block ×3, first 2 shown]
	v_mov_b32_e32 v31, v40
	s_swappc_b64 s[30:31], s[0:1]
.LBB2_505:                              ;   in Loop: Header=BB2_82 Depth=1
	s_mov_b64 s[0:1], 0
.LBB2_506:                              ;   in Loop: Header=BB2_82 Depth=1
	s_andn2_b64 vcc, exec, s[0:1]
	s_cbranch_vccnz .LBB2_576
; %bb.507:                              ;   in Loop: Header=BB2_82 Depth=1
	s_cmp_gt_u32 s66, 54
	s_mov_b64 s[0:1], -1
	s_cbranch_scc0 .LBB2_546
; %bb.508:                              ;   in Loop: Header=BB2_82 Depth=1
	s_cmp_gt_u32 s66, 59
	s_cbranch_scc0 .LBB2_529
; %bb.509:                              ;   in Loop: Header=BB2_82 Depth=1
	s_cmp_gt_u32 s66, 62
	s_cbranch_scc0 .LBB2_519
; %bb.510:                              ;   in Loop: Header=BB2_82 Depth=1
	s_sext_i32_i16 s0, s80
	s_cmp_lt_i32 s0, 64
	s_mov_b64 s[0:1], -1
	s_cbranch_scc1 .LBB2_516
; %bb.511:                              ;   in Loop: Header=BB2_82 Depth=1
	s_cmp_lg_u32 s66, 64
	s_cbranch_scc0 .LBB2_513
; %bb.512:                              ;   in Loop: Header=BB2_82 Depth=1
	s_add_u32 s8, s36, 0x1000
	s_addc_u32 s9, s37, 0
	s_getpc_b64 s[0:1]
	s_add_u32 s0, s0, _Z48ncclDevFunc_ReduceScatter_RING_LL_Prod_f32_0_0_4v@rel32@lo+4
	s_addc_u32 s1, s1, _Z48ncclDevFunc_ReduceScatter_RING_LL_Prod_f32_0_0_4v@rel32@hi+12
	s_mov_b64 s[4:5], s[48:49]
	s_mov_b64 s[6:7], s[38:39]
	;; [unrolled: 1-line block ×3, first 2 shown]
	s_mov_b32 s12, s55
	s_mov_b32 s13, s54
	;; [unrolled: 1-line block ×3, first 2 shown]
	v_mov_b32_e32 v31, v40
	s_swappc_b64 s[30:31], s[0:1]
	s_mov_b64 s[0:1], 0
.LBB2_513:                              ;   in Loop: Header=BB2_82 Depth=1
	s_andn2_b64 vcc, exec, s[0:1]
	s_cbranch_vccnz .LBB2_515
; %bb.514:                              ;   in Loop: Header=BB2_82 Depth=1
	s_add_u32 s8, s36, 0x1000
	s_addc_u32 s9, s37, 0
	s_getpc_b64 s[0:1]
	s_add_u32 s0, s0, _Z48ncclDevFunc_ReduceScatter_RING_LL_Prod_f16_0_0_4v@rel32@lo+4
	s_addc_u32 s1, s1, _Z48ncclDevFunc_ReduceScatter_RING_LL_Prod_f16_0_0_4v@rel32@hi+12
	s_mov_b64 s[4:5], s[48:49]
	s_mov_b64 s[6:7], s[38:39]
	;; [unrolled: 1-line block ×3, first 2 shown]
	s_mov_b32 s12, s55
	s_mov_b32 s13, s54
	;; [unrolled: 1-line block ×3, first 2 shown]
	v_mov_b32_e32 v31, v40
	s_swappc_b64 s[30:31], s[0:1]
.LBB2_515:                              ;   in Loop: Header=BB2_82 Depth=1
	s_mov_b64 s[0:1], 0
.LBB2_516:                              ;   in Loop: Header=BB2_82 Depth=1
	s_andn2_b64 vcc, exec, s[0:1]
	s_cbranch_vccnz .LBB2_518
; %bb.517:                              ;   in Loop: Header=BB2_82 Depth=1
	s_add_u32 s8, s36, 0x1000
	s_addc_u32 s9, s37, 0
	s_getpc_b64 s[0:1]
	s_add_u32 s0, s0, _Z48ncclDevFunc_ReduceScatter_RING_LL_Prod_u64_0_0_4v@rel32@lo+4
	s_addc_u32 s1, s1, _Z48ncclDevFunc_ReduceScatter_RING_LL_Prod_u64_0_0_4v@rel32@hi+12
	s_mov_b64 s[4:5], s[48:49]
	s_mov_b64 s[6:7], s[38:39]
	;; [unrolled: 1-line block ×3, first 2 shown]
	s_mov_b32 s12, s55
	s_mov_b32 s13, s54
	;; [unrolled: 1-line block ×3, first 2 shown]
	v_mov_b32_e32 v31, v40
	s_swappc_b64 s[30:31], s[0:1]
.LBB2_518:                              ;   in Loop: Header=BB2_82 Depth=1
	s_mov_b64 s[0:1], 0
.LBB2_519:                              ;   in Loop: Header=BB2_82 Depth=1
	s_and_b64 vcc, exec, s[0:1]
	s_cbranch_vccz .LBB2_528
; %bb.520:                              ;   in Loop: Header=BB2_82 Depth=1
	s_sext_i32_i16 s0, s80
	s_cmp_lt_i32 s0, 61
	s_mov_b64 s[0:1], -1
	s_cbranch_scc1 .LBB2_526
; %bb.521:                              ;   in Loop: Header=BB2_82 Depth=1
	s_cmp_lg_u32 s66, 61
	s_cbranch_scc0 .LBB2_523
; %bb.522:                              ;   in Loop: Header=BB2_82 Depth=1
	s_add_u32 s8, s36, 0x1000
	s_addc_u32 s9, s37, 0
	s_getpc_b64 s[0:1]
	s_add_u32 s0, s0, _Z48ncclDevFunc_ReduceScatter_RING_LL_Prod_u32_0_0_4v@rel32@lo+4
	s_addc_u32 s1, s1, _Z48ncclDevFunc_ReduceScatter_RING_LL_Prod_u32_0_0_4v@rel32@hi+12
	s_mov_b64 s[4:5], s[48:49]
	s_mov_b64 s[6:7], s[38:39]
	;; [unrolled: 1-line block ×3, first 2 shown]
	s_mov_b32 s12, s55
	s_mov_b32 s13, s54
	;; [unrolled: 1-line block ×3, first 2 shown]
	v_mov_b32_e32 v31, v40
	s_swappc_b64 s[30:31], s[0:1]
	s_mov_b64 s[0:1], 0
.LBB2_523:                              ;   in Loop: Header=BB2_82 Depth=1
	s_andn2_b64 vcc, exec, s[0:1]
	s_cbranch_vccnz .LBB2_525
; %bb.524:                              ;   in Loop: Header=BB2_82 Depth=1
	s_add_u32 s8, s36, 0x1000
	s_addc_u32 s9, s37, 0
	s_getpc_b64 s[0:1]
	s_add_u32 s0, s0, _Z47ncclDevFunc_ReduceScatter_RING_LL_Prod_u8_0_0_4v@rel32@lo+4
	s_addc_u32 s1, s1, _Z47ncclDevFunc_ReduceScatter_RING_LL_Prod_u8_0_0_4v@rel32@hi+12
	s_mov_b64 s[4:5], s[48:49]
	s_mov_b64 s[6:7], s[38:39]
	;; [unrolled: 1-line block ×3, first 2 shown]
	s_mov_b32 s12, s55
	s_mov_b32 s13, s54
	;; [unrolled: 1-line block ×3, first 2 shown]
	v_mov_b32_e32 v31, v40
	s_swappc_b64 s[30:31], s[0:1]
.LBB2_525:                              ;   in Loop: Header=BB2_82 Depth=1
	s_mov_b64 s[0:1], 0
.LBB2_526:                              ;   in Loop: Header=BB2_82 Depth=1
	s_andn2_b64 vcc, exec, s[0:1]
	s_cbranch_vccnz .LBB2_528
; %bb.527:                              ;   in Loop: Header=BB2_82 Depth=1
	s_add_u32 s8, s36, 0x1000
	s_addc_u32 s9, s37, 0
	s_getpc_b64 s[0:1]
	s_add_u32 s0, s0, _Z50ncclDevFunc_ReduceScatter_RING_LL_Sum_f8e5m2_0_0_4v@rel32@lo+4
	s_addc_u32 s1, s1, _Z50ncclDevFunc_ReduceScatter_RING_LL_Sum_f8e5m2_0_0_4v@rel32@hi+12
	s_mov_b64 s[4:5], s[48:49]
	s_mov_b64 s[6:7], s[38:39]
	;; [unrolled: 1-line block ×3, first 2 shown]
	s_mov_b32 s12, s55
	s_mov_b32 s13, s54
	;; [unrolled: 1-line block ×3, first 2 shown]
	v_mov_b32_e32 v31, v40
	s_swappc_b64 s[30:31], s[0:1]
.LBB2_528:                              ;   in Loop: Header=BB2_82 Depth=1
	s_mov_b64 s[0:1], 0
.LBB2_529:                              ;   in Loop: Header=BB2_82 Depth=1
	s_andn2_b64 vcc, exec, s[0:1]
	s_cbranch_vccnz .LBB2_545
; %bb.530:                              ;   in Loop: Header=BB2_82 Depth=1
	s_cmp_gt_u32 s66, 56
	s_mov_b64 s[0:1], -1
	s_cbranch_scc0 .LBB2_540
; %bb.531:                              ;   in Loop: Header=BB2_82 Depth=1
	s_sext_i32_i16 s0, s80
	s_cmp_lt_i32 s0, 58
	s_mov_b64 s[0:1], -1
	s_cbranch_scc1 .LBB2_537
; %bb.532:                              ;   in Loop: Header=BB2_82 Depth=1
	s_cmp_lg_u32 s66, 58
	s_cbranch_scc0 .LBB2_534
; %bb.533:                              ;   in Loop: Header=BB2_82 Depth=1
	s_add_u32 s8, s36, 0x1000
	s_addc_u32 s9, s37, 0
	s_getpc_b64 s[0:1]
	s_add_u32 s0, s0, _Z50ncclDevFunc_ReduceScatter_RING_LL_Sum_f8e4m3_0_0_4v@rel32@lo+4
	s_addc_u32 s1, s1, _Z50ncclDevFunc_ReduceScatter_RING_LL_Sum_f8e4m3_0_0_4v@rel32@hi+12
	s_mov_b64 s[4:5], s[48:49]
	s_mov_b64 s[6:7], s[38:39]
	;; [unrolled: 1-line block ×3, first 2 shown]
	s_mov_b32 s12, s55
	s_mov_b32 s13, s54
	;; [unrolled: 1-line block ×3, first 2 shown]
	v_mov_b32_e32 v31, v40
	s_swappc_b64 s[30:31], s[0:1]
	s_mov_b64 s[0:1], 0
.LBB2_534:                              ;   in Loop: Header=BB2_82 Depth=1
	s_andn2_b64 vcc, exec, s[0:1]
	s_cbranch_vccnz .LBB2_536
; %bb.535:                              ;   in Loop: Header=BB2_82 Depth=1
	s_add_u32 s8, s36, 0x1000
	s_addc_u32 s9, s37, 0
	s_getpc_b64 s[0:1]
	s_add_u32 s0, s0, _Z48ncclDevFunc_ReduceScatter_RING_LL_Sum_bf16_0_0_4v@rel32@lo+4
	s_addc_u32 s1, s1, _Z48ncclDevFunc_ReduceScatter_RING_LL_Sum_bf16_0_0_4v@rel32@hi+12
	s_mov_b64 s[4:5], s[48:49]
	s_mov_b64 s[6:7], s[38:39]
	;; [unrolled: 1-line block ×3, first 2 shown]
	s_mov_b32 s12, s55
	s_mov_b32 s13, s54
	;; [unrolled: 1-line block ×3, first 2 shown]
	v_mov_b32_e32 v31, v40
	s_swappc_b64 s[30:31], s[0:1]
.LBB2_536:                              ;   in Loop: Header=BB2_82 Depth=1
	s_mov_b64 s[0:1], 0
.LBB2_537:                              ;   in Loop: Header=BB2_82 Depth=1
	s_andn2_b64 vcc, exec, s[0:1]
	s_cbranch_vccnz .LBB2_539
; %bb.538:                              ;   in Loop: Header=BB2_82 Depth=1
	s_add_u32 s8, s36, 0x1000
	s_addc_u32 s9, s37, 0
	s_getpc_b64 s[0:1]
	s_add_u32 s0, s0, _Z47ncclDevFunc_ReduceScatter_RING_LL_Sum_f64_0_0_4v@rel32@lo+4
	s_addc_u32 s1, s1, _Z47ncclDevFunc_ReduceScatter_RING_LL_Sum_f64_0_0_4v@rel32@hi+12
	s_mov_b64 s[4:5], s[48:49]
	s_mov_b64 s[6:7], s[38:39]
	;; [unrolled: 1-line block ×3, first 2 shown]
	s_mov_b32 s12, s55
	s_mov_b32 s13, s54
	;; [unrolled: 1-line block ×3, first 2 shown]
	v_mov_b32_e32 v31, v40
	s_swappc_b64 s[30:31], s[0:1]
.LBB2_539:                              ;   in Loop: Header=BB2_82 Depth=1
	s_mov_b64 s[0:1], 0
.LBB2_540:                              ;   in Loop: Header=BB2_82 Depth=1
	s_and_b64 vcc, exec, s[0:1]
	s_cbranch_vccz .LBB2_545
; %bb.541:                              ;   in Loop: Header=BB2_82 Depth=1
	s_cmp_eq_u32 s66, 56
	s_mov_b64 s[0:1], -1
	s_cbranch_scc1 .LBB2_543
; %bb.542:                              ;   in Loop: Header=BB2_82 Depth=1
	s_add_u32 s8, s36, 0x1000
	s_addc_u32 s9, s37, 0
	s_getpc_b64 s[0:1]
	s_add_u32 s0, s0, _Z47ncclDevFunc_ReduceScatter_RING_LL_Sum_f16_0_0_4v@rel32@lo+4
	s_addc_u32 s1, s1, _Z47ncclDevFunc_ReduceScatter_RING_LL_Sum_f16_0_0_4v@rel32@hi+12
	s_mov_b64 s[4:5], s[48:49]
	s_mov_b64 s[6:7], s[38:39]
	;; [unrolled: 1-line block ×3, first 2 shown]
	s_mov_b32 s12, s55
	s_mov_b32 s13, s54
	;; [unrolled: 1-line block ×3, first 2 shown]
	v_mov_b32_e32 v31, v40
	s_swappc_b64 s[30:31], s[0:1]
	s_mov_b64 s[0:1], 0
.LBB2_543:                              ;   in Loop: Header=BB2_82 Depth=1
	s_andn2_b64 vcc, exec, s[0:1]
	s_cbranch_vccnz .LBB2_545
; %bb.544:                              ;   in Loop: Header=BB2_82 Depth=1
	s_add_u32 s8, s36, 0x1000
	s_addc_u32 s9, s37, 0
	s_getpc_b64 s[0:1]
	s_add_u32 s0, s0, _Z47ncclDevFunc_ReduceScatter_RING_LL_Sum_f32_0_0_4v@rel32@lo+4
	s_addc_u32 s1, s1, _Z47ncclDevFunc_ReduceScatter_RING_LL_Sum_f32_0_0_4v@rel32@hi+12
	s_mov_b64 s[4:5], s[48:49]
	s_mov_b64 s[6:7], s[38:39]
	;; [unrolled: 1-line block ×3, first 2 shown]
	s_mov_b32 s12, s55
	s_mov_b32 s13, s54
	;; [unrolled: 1-line block ×3, first 2 shown]
	v_mov_b32_e32 v31, v40
	s_swappc_b64 s[30:31], s[0:1]
.LBB2_545:                              ;   in Loop: Header=BB2_82 Depth=1
	s_mov_b64 s[0:1], 0
.LBB2_546:                              ;   in Loop: Header=BB2_82 Depth=1
	s_andn2_b64 vcc, exec, s[0:1]
	s_cbranch_vccnz .LBB2_576
; %bb.547:                              ;   in Loop: Header=BB2_82 Depth=1
	s_cmp_gt_u32 s66, 48
	s_mov_b64 s[0:1], -1
	s_cbranch_scc0 .LBB2_564
; %bb.548:                              ;   in Loop: Header=BB2_82 Depth=1
	s_cmp_gt_u32 s66, 51
	s_cbranch_scc0 .LBB2_558
; %bb.549:                              ;   in Loop: Header=BB2_82 Depth=1
	s_sext_i32_i16 s0, s80
	s_cmp_lt_i32 s0, 53
	s_mov_b64 s[0:1], -1
	s_cbranch_scc1 .LBB2_555
; %bb.550:                              ;   in Loop: Header=BB2_82 Depth=1
	s_cmp_lg_u32 s66, 53
	s_cbranch_scc0 .LBB2_552
; %bb.551:                              ;   in Loop: Header=BB2_82 Depth=1
	s_add_u32 s8, s36, 0x1000
	s_addc_u32 s9, s37, 0
	s_getpc_b64 s[0:1]
	s_add_u32 s0, s0, _Z47ncclDevFunc_ReduceScatter_RING_LL_Sum_u64_0_0_4v@rel32@lo+4
	s_addc_u32 s1, s1, _Z47ncclDevFunc_ReduceScatter_RING_LL_Sum_u64_0_0_4v@rel32@hi+12
	s_mov_b64 s[4:5], s[48:49]
	s_mov_b64 s[6:7], s[38:39]
	s_mov_b64 s[10:11], s[34:35]
	s_mov_b32 s12, s55
	s_mov_b32 s13, s54
	;; [unrolled: 1-line block ×3, first 2 shown]
	v_mov_b32_e32 v31, v40
	s_swappc_b64 s[30:31], s[0:1]
	s_mov_b64 s[0:1], 0
.LBB2_552:                              ;   in Loop: Header=BB2_82 Depth=1
	s_andn2_b64 vcc, exec, s[0:1]
	s_cbranch_vccnz .LBB2_554
; %bb.553:                              ;   in Loop: Header=BB2_82 Depth=1
	s_add_u32 s8, s36, 0x1000
	s_addc_u32 s9, s37, 0
	s_getpc_b64 s[0:1]
	s_add_u32 s0, s0, _Z47ncclDevFunc_ReduceScatter_RING_LL_Sum_u32_0_0_4v@rel32@lo+4
	s_addc_u32 s1, s1, _Z47ncclDevFunc_ReduceScatter_RING_LL_Sum_u32_0_0_4v@rel32@hi+12
	s_mov_b64 s[4:5], s[48:49]
	s_mov_b64 s[6:7], s[38:39]
	;; [unrolled: 1-line block ×3, first 2 shown]
	s_mov_b32 s12, s55
	s_mov_b32 s13, s54
	;; [unrolled: 1-line block ×3, first 2 shown]
	v_mov_b32_e32 v31, v40
	s_swappc_b64 s[30:31], s[0:1]
.LBB2_554:                              ;   in Loop: Header=BB2_82 Depth=1
	s_mov_b64 s[0:1], 0
.LBB2_555:                              ;   in Loop: Header=BB2_82 Depth=1
	s_andn2_b64 vcc, exec, s[0:1]
	s_cbranch_vccnz .LBB2_557
; %bb.556:                              ;   in Loop: Header=BB2_82 Depth=1
	s_add_u32 s8, s36, 0x1000
	s_addc_u32 s9, s37, 0
	s_getpc_b64 s[0:1]
	s_add_u32 s0, s0, _Z46ncclDevFunc_ReduceScatter_RING_LL_Sum_u8_0_0_4v@rel32@lo+4
	s_addc_u32 s1, s1, _Z46ncclDevFunc_ReduceScatter_RING_LL_Sum_u8_0_0_4v@rel32@hi+12
	s_mov_b64 s[4:5], s[48:49]
	s_mov_b64 s[6:7], s[38:39]
	;; [unrolled: 1-line block ×3, first 2 shown]
	s_mov_b32 s12, s55
	s_mov_b32 s13, s54
	;; [unrolled: 1-line block ×3, first 2 shown]
	v_mov_b32_e32 v31, v40
	s_swappc_b64 s[30:31], s[0:1]
.LBB2_557:                              ;   in Loop: Header=BB2_82 Depth=1
	s_mov_b64 s[0:1], 0
.LBB2_558:                              ;   in Loop: Header=BB2_82 Depth=1
	s_and_b64 vcc, exec, s[0:1]
	s_cbranch_vccz .LBB2_563
; %bb.559:                              ;   in Loop: Header=BB2_82 Depth=1
	s_cmp_lg_u32 s66, 49
	s_mov_b64 s[0:1], -1
	s_cbranch_scc0 .LBB2_561
; %bb.560:                              ;   in Loop: Header=BB2_82 Depth=1
	s_add_u32 s8, s36, 0x1000
	s_addc_u32 s9, s37, 0
	s_getpc_b64 s[0:1]
	s_add_u32 s0, s0, _Z45ncclDevFunc_AllGather_PAT_SIMPLE_Sum_i8_0_0_4v@rel32@lo+4
	s_addc_u32 s1, s1, _Z45ncclDevFunc_AllGather_PAT_SIMPLE_Sum_i8_0_0_4v@rel32@hi+12
	s_mov_b64 s[4:5], s[48:49]
	s_mov_b64 s[6:7], s[38:39]
	;; [unrolled: 1-line block ×3, first 2 shown]
	s_mov_b32 s12, s55
	s_mov_b32 s13, s54
	;; [unrolled: 1-line block ×3, first 2 shown]
	v_mov_b32_e32 v31, v40
	s_swappc_b64 s[30:31], s[0:1]
	s_mov_b64 s[0:1], 0
.LBB2_561:                              ;   in Loop: Header=BB2_82 Depth=1
	s_andn2_b64 vcc, exec, s[0:1]
	s_cbranch_vccnz .LBB2_563
; %bb.562:                              ;   in Loop: Header=BB2_82 Depth=1
	s_add_u32 s8, s36, 0x1000
	s_addc_u32 s9, s37, 0
	s_getpc_b64 s[0:1]
	s_add_u32 s0, s0, _Z41ncclDevFunc_AllGather_PAT_LL_Sum_i8_0_0_4v@rel32@lo+4
	s_addc_u32 s1, s1, _Z41ncclDevFunc_AllGather_PAT_LL_Sum_i8_0_0_4v@rel32@hi+12
	s_mov_b64 s[4:5], s[48:49]
	s_mov_b64 s[6:7], s[38:39]
	;; [unrolled: 1-line block ×3, first 2 shown]
	s_mov_b32 s12, s55
	s_mov_b32 s13, s54
	;; [unrolled: 1-line block ×3, first 2 shown]
	v_mov_b32_e32 v31, v40
	s_swappc_b64 s[30:31], s[0:1]
.LBB2_563:                              ;   in Loop: Header=BB2_82 Depth=1
	s_mov_b64 s[0:1], 0
.LBB2_564:                              ;   in Loop: Header=BB2_82 Depth=1
	s_andn2_b64 vcc, exec, s[0:1]
	s_cbranch_vccnz .LBB2_576
; %bb.565:                              ;   in Loop: Header=BB2_82 Depth=1
	s_cmp_gt_u32 s66, 45
	s_mov_b64 s[0:1], -1
	s_cbranch_scc0 .LBB2_571
; %bb.566:                              ;   in Loop: Header=BB2_82 Depth=1
	s_cmp_lg_u32 s66, 46
	s_cbranch_scc0 .LBB2_568
; %bb.567:                              ;   in Loop: Header=BB2_82 Depth=1
	s_add_u32 s8, s36, 0x1000
	s_addc_u32 s9, s37, 0
	s_getpc_b64 s[0:1]
	s_add_u32 s0, s0, _Z46ncclDevFunc_AllGather_RING_SIMPLE_Sum_i8_0_0_4v@rel32@lo+4
	s_addc_u32 s1, s1, _Z46ncclDevFunc_AllGather_RING_SIMPLE_Sum_i8_0_0_4v@rel32@hi+12
	s_mov_b64 s[4:5], s[48:49]
	s_mov_b64 s[6:7], s[38:39]
	;; [unrolled: 1-line block ×3, first 2 shown]
	s_mov_b32 s12, s55
	s_mov_b32 s13, s54
	;; [unrolled: 1-line block ×3, first 2 shown]
	v_mov_b32_e32 v31, v40
	s_swappc_b64 s[30:31], s[0:1]
	s_mov_b64 s[0:1], 0
.LBB2_568:                              ;   in Loop: Header=BB2_82 Depth=1
	s_andn2_b64 vcc, exec, s[0:1]
	s_cbranch_vccnz .LBB2_570
; %bb.569:                              ;   in Loop: Header=BB2_82 Depth=1
	s_add_u32 s8, s36, 0x1000
	s_addc_u32 s9, s37, 0
	s_getpc_b64 s[0:1]
	s_add_u32 s0, s0, _Z42ncclDevFunc_AllGather_RING_LL_Sum_i8_0_0_4v@rel32@lo+4
	s_addc_u32 s1, s1, _Z42ncclDevFunc_AllGather_RING_LL_Sum_i8_0_0_4v@rel32@hi+12
	s_mov_b64 s[4:5], s[48:49]
	s_mov_b64 s[6:7], s[38:39]
	;; [unrolled: 1-line block ×3, first 2 shown]
	s_mov_b32 s12, s55
	s_mov_b32 s13, s54
	;; [unrolled: 1-line block ×3, first 2 shown]
	v_mov_b32_e32 v31, v40
	s_swappc_b64 s[30:31], s[0:1]
.LBB2_570:                              ;   in Loop: Header=BB2_82 Depth=1
	s_mov_b64 s[0:1], 0
.LBB2_571:                              ;   in Loop: Header=BB2_82 Depth=1
	s_andn2_b64 vcc, exec, s[0:1]
	s_cbranch_vccnz .LBB2_576
; %bb.572:                              ;   in Loop: Header=BB2_82 Depth=1
	s_cmp_eq_u32 s66, 45
	s_mov_b64 s[0:1], -1
	s_cbranch_scc1 .LBB2_574
; %bb.573:                              ;   in Loop: Header=BB2_82 Depth=1
	s_add_u32 s8, s36, 0x1000
	s_addc_u32 s9, s37, 0
	s_getpc_b64 s[0:1]
	s_add_u32 s0, s0, _Z51ncclDevFunc_Reduce_RING_SIMPLE_SumPostDiv_u32_0_0_4v@rel32@lo+4
	s_addc_u32 s1, s1, _Z51ncclDevFunc_Reduce_RING_SIMPLE_SumPostDiv_u32_0_0_4v@rel32@hi+12
	s_mov_b64 s[4:5], s[48:49]
	s_mov_b64 s[6:7], s[38:39]
	;; [unrolled: 1-line block ×3, first 2 shown]
	s_mov_b32 s12, s55
	s_mov_b32 s13, s54
	s_mov_b32 s14, s33
	v_mov_b32_e32 v31, v40
	s_swappc_b64 s[30:31], s[0:1]
	s_mov_b64 s[0:1], 0
.LBB2_574:                              ;   in Loop: Header=BB2_82 Depth=1
	s_andn2_b64 vcc, exec, s[0:1]
	s_cbranch_vccnz .LBB2_576
; %bb.575:                              ;   in Loop: Header=BB2_82 Depth=1
	s_add_u32 s8, s36, 0x1000
	s_addc_u32 s9, s37, 0
	s_getpc_b64 s[0:1]
	s_add_u32 s0, s0, _Z51ncclDevFunc_Reduce_RING_SIMPLE_SumPostDiv_u64_0_0_4v@rel32@lo+4
	s_addc_u32 s1, s1, _Z51ncclDevFunc_Reduce_RING_SIMPLE_SumPostDiv_u64_0_0_4v@rel32@hi+12
	s_mov_b64 s[4:5], s[48:49]
	s_mov_b64 s[6:7], s[38:39]
	;; [unrolled: 1-line block ×3, first 2 shown]
	s_mov_b32 s12, s55
	s_mov_b32 s13, s54
	;; [unrolled: 1-line block ×3, first 2 shown]
	v_mov_b32_e32 v31, v40
	s_swappc_b64 s[30:31], s[0:1]
.LBB2_576:                              ;   in Loop: Header=BB2_82 Depth=1
	s_mov_b64 s[0:1], 0
.LBB2_577:                              ;   in Loop: Header=BB2_82 Depth=1
	s_andn2_b64 vcc, exec, s[0:1]
	s_cbranch_vccnz .LBB2_732
; %bb.578:                              ;   in Loop: Header=BB2_82 Depth=1
	s_cmp_gt_u32 s66, 21
	s_mov_b64 s[0:1], -1
	s_cbranch_scc0 .LBB2_657
; %bb.579:                              ;   in Loop: Header=BB2_82 Depth=1
	s_cmp_gt_u32 s66, 32
	s_cbranch_scc0 .LBB2_618
; %bb.580:                              ;   in Loop: Header=BB2_82 Depth=1
	s_cmp_gt_u32 s66, 37
	;; [unrolled: 3-line block ×3, first 2 shown]
	s_cbranch_scc0 .LBB2_591
; %bb.582:                              ;   in Loop: Header=BB2_82 Depth=1
	s_sext_i32_i16 s0, s80
	s_cmp_lt_i32 s0, 42
	s_mov_b64 s[0:1], -1
	s_cbranch_scc1 .LBB2_588
; %bb.583:                              ;   in Loop: Header=BB2_82 Depth=1
	s_cmp_lg_u32 s66, 42
	s_cbranch_scc0 .LBB2_585
; %bb.584:                              ;   in Loop: Header=BB2_82 Depth=1
	s_add_u32 s8, s36, 0x1000
	s_addc_u32 s9, s37, 0
	s_getpc_b64 s[0:1]
	s_add_u32 s0, s0, _Z50ncclDevFunc_Reduce_RING_SIMPLE_SumPostDiv_u8_0_0_4v@rel32@lo+4
	s_addc_u32 s1, s1, _Z50ncclDevFunc_Reduce_RING_SIMPLE_SumPostDiv_u8_0_0_4v@rel32@hi+12
	s_mov_b64 s[4:5], s[48:49]
	s_mov_b64 s[6:7], s[38:39]
	;; [unrolled: 1-line block ×3, first 2 shown]
	s_mov_b32 s12, s55
	s_mov_b32 s13, s54
	s_mov_b32 s14, s33
	v_mov_b32_e32 v31, v40
	s_swappc_b64 s[30:31], s[0:1]
	s_mov_b64 s[0:1], 0
.LBB2_585:                              ;   in Loop: Header=BB2_82 Depth=1
	s_andn2_b64 vcc, exec, s[0:1]
	s_cbranch_vccnz .LBB2_587
; %bb.586:                              ;   in Loop: Header=BB2_82 Depth=1
	s_add_u32 s8, s36, 0x1000
	s_addc_u32 s9, s37, 0
	s_getpc_b64 s[0:1]
	s_add_u32 s0, s0, _Z53ncclDevFunc_Reduce_RING_SIMPLE_PreMulSum_f8e5m2_0_0_4v@rel32@lo+4
	s_addc_u32 s1, s1, _Z53ncclDevFunc_Reduce_RING_SIMPLE_PreMulSum_f8e5m2_0_0_4v@rel32@hi+12
	s_mov_b64 s[4:5], s[48:49]
	s_mov_b64 s[6:7], s[38:39]
	;; [unrolled: 1-line block ×3, first 2 shown]
	s_mov_b32 s12, s55
	s_mov_b32 s13, s54
	;; [unrolled: 1-line block ×3, first 2 shown]
	v_mov_b32_e32 v31, v40
	s_swappc_b64 s[30:31], s[0:1]
.LBB2_587:                              ;   in Loop: Header=BB2_82 Depth=1
	s_mov_b64 s[0:1], 0
.LBB2_588:                              ;   in Loop: Header=BB2_82 Depth=1
	s_andn2_b64 vcc, exec, s[0:1]
	s_cbranch_vccnz .LBB2_590
; %bb.589:                              ;   in Loop: Header=BB2_82 Depth=1
	s_add_u32 s8, s36, 0x1000
	s_addc_u32 s9, s37, 0
	s_getpc_b64 s[0:1]
	s_add_u32 s0, s0, _Z53ncclDevFunc_Reduce_RING_SIMPLE_PreMulSum_f8e4m3_0_0_4v@rel32@lo+4
	s_addc_u32 s1, s1, _Z53ncclDevFunc_Reduce_RING_SIMPLE_PreMulSum_f8e4m3_0_0_4v@rel32@hi+12
	s_mov_b64 s[4:5], s[48:49]
	s_mov_b64 s[6:7], s[38:39]
	;; [unrolled: 1-line block ×3, first 2 shown]
	s_mov_b32 s12, s55
	s_mov_b32 s13, s54
	;; [unrolled: 1-line block ×3, first 2 shown]
	v_mov_b32_e32 v31, v40
	s_swappc_b64 s[30:31], s[0:1]
.LBB2_590:                              ;   in Loop: Header=BB2_82 Depth=1
	s_mov_b64 s[0:1], 0
.LBB2_591:                              ;   in Loop: Header=BB2_82 Depth=1
	s_and_b64 vcc, exec, s[0:1]
	s_cbranch_vccz .LBB2_600
; %bb.592:                              ;   in Loop: Header=BB2_82 Depth=1
	s_sext_i32_i16 s0, s80
	s_cmp_lt_i32 s0, 39
	s_mov_b64 s[0:1], -1
	s_cbranch_scc1 .LBB2_598
; %bb.593:                              ;   in Loop: Header=BB2_82 Depth=1
	s_cmp_lg_u32 s66, 39
	s_cbranch_scc0 .LBB2_595
; %bb.594:                              ;   in Loop: Header=BB2_82 Depth=1
	s_add_u32 s8, s36, 0x1000
	s_addc_u32 s9, s37, 0
	s_getpc_b64 s[0:1]
	s_add_u32 s0, s0, _Z51ncclDevFunc_Reduce_RING_SIMPLE_PreMulSum_bf16_0_1_4v@rel32@lo+4
	s_addc_u32 s1, s1, _Z51ncclDevFunc_Reduce_RING_SIMPLE_PreMulSum_bf16_0_1_4v@rel32@hi+12
	s_mov_b64 s[4:5], s[48:49]
	s_mov_b64 s[6:7], s[38:39]
	;; [unrolled: 1-line block ×3, first 2 shown]
	s_mov_b32 s12, s55
	s_mov_b32 s13, s54
	;; [unrolled: 1-line block ×3, first 2 shown]
	v_mov_b32_e32 v31, v40
	s_swappc_b64 s[30:31], s[0:1]
	s_mov_b64 s[0:1], 0
.LBB2_595:                              ;   in Loop: Header=BB2_82 Depth=1
	s_andn2_b64 vcc, exec, s[0:1]
	s_cbranch_vccnz .LBB2_597
; %bb.596:                              ;   in Loop: Header=BB2_82 Depth=1
	s_add_u32 s8, s36, 0x1000
	s_addc_u32 s9, s37, 0
	s_getpc_b64 s[0:1]
	s_add_u32 s0, s0, _Z51ncclDevFunc_Reduce_RING_SIMPLE_PreMulSum_bf16_0_0_4v@rel32@lo+4
	s_addc_u32 s1, s1, _Z51ncclDevFunc_Reduce_RING_SIMPLE_PreMulSum_bf16_0_0_4v@rel32@hi+12
	s_mov_b64 s[4:5], s[48:49]
	s_mov_b64 s[6:7], s[38:39]
	;; [unrolled: 1-line block ×3, first 2 shown]
	s_mov_b32 s12, s55
	s_mov_b32 s13, s54
	;; [unrolled: 1-line block ×3, first 2 shown]
	v_mov_b32_e32 v31, v40
	s_swappc_b64 s[30:31], s[0:1]
.LBB2_597:                              ;   in Loop: Header=BB2_82 Depth=1
	s_mov_b64 s[0:1], 0
.LBB2_598:                              ;   in Loop: Header=BB2_82 Depth=1
	s_andn2_b64 vcc, exec, s[0:1]
	s_cbranch_vccnz .LBB2_600
; %bb.599:                              ;   in Loop: Header=BB2_82 Depth=1
	s_add_u32 s8, s36, 0x1000
	s_addc_u32 s9, s37, 0
	s_getpc_b64 s[0:1]
	s_add_u32 s0, s0, _Z50ncclDevFunc_Reduce_RING_SIMPLE_PreMulSum_f64_0_0_4v@rel32@lo+4
	s_addc_u32 s1, s1, _Z50ncclDevFunc_Reduce_RING_SIMPLE_PreMulSum_f64_0_0_4v@rel32@hi+12
	s_mov_b64 s[4:5], s[48:49]
	s_mov_b64 s[6:7], s[38:39]
	;; [unrolled: 1-line block ×3, first 2 shown]
	s_mov_b32 s12, s55
	s_mov_b32 s13, s54
	;; [unrolled: 1-line block ×3, first 2 shown]
	v_mov_b32_e32 v31, v40
	s_swappc_b64 s[30:31], s[0:1]
.LBB2_600:                              ;   in Loop: Header=BB2_82 Depth=1
	s_mov_b64 s[0:1], 0
.LBB2_601:                              ;   in Loop: Header=BB2_82 Depth=1
	s_andn2_b64 vcc, exec, s[0:1]
	s_cbranch_vccnz .LBB2_617
; %bb.602:                              ;   in Loop: Header=BB2_82 Depth=1
	s_cmp_gt_u32 s66, 34
	s_mov_b64 s[0:1], -1
	s_cbranch_scc0 .LBB2_612
; %bb.603:                              ;   in Loop: Header=BB2_82 Depth=1
	s_sext_i32_i16 s0, s80
	s_cmp_lt_i32 s0, 36
	s_mov_b64 s[0:1], -1
	s_cbranch_scc1 .LBB2_609
; %bb.604:                              ;   in Loop: Header=BB2_82 Depth=1
	s_cmp_lg_u32 s66, 36
	s_cbranch_scc0 .LBB2_606
; %bb.605:                              ;   in Loop: Header=BB2_82 Depth=1
	s_add_u32 s8, s36, 0x1000
	s_addc_u32 s9, s37, 0
	s_getpc_b64 s[0:1]
	s_add_u32 s0, s0, _Z50ncclDevFunc_Reduce_RING_SIMPLE_PreMulSum_f32_0_0_4v@rel32@lo+4
	s_addc_u32 s1, s1, _Z50ncclDevFunc_Reduce_RING_SIMPLE_PreMulSum_f32_0_0_4v@rel32@hi+12
	s_mov_b64 s[4:5], s[48:49]
	s_mov_b64 s[6:7], s[38:39]
	;; [unrolled: 1-line block ×3, first 2 shown]
	s_mov_b32 s12, s55
	s_mov_b32 s13, s54
	s_mov_b32 s14, s33
	v_mov_b32_e32 v31, v40
	s_swappc_b64 s[30:31], s[0:1]
	s_mov_b64 s[0:1], 0
.LBB2_606:                              ;   in Loop: Header=BB2_82 Depth=1
	s_andn2_b64 vcc, exec, s[0:1]
	s_cbranch_vccnz .LBB2_608
; %bb.607:                              ;   in Loop: Header=BB2_82 Depth=1
	s_add_u32 s8, s36, 0x1000
	s_addc_u32 s9, s37, 0
	s_getpc_b64 s[0:1]
	s_add_u32 s0, s0, _Z50ncclDevFunc_Reduce_RING_SIMPLE_PreMulSum_f16_0_0_4v@rel32@lo+4
	s_addc_u32 s1, s1, _Z50ncclDevFunc_Reduce_RING_SIMPLE_PreMulSum_f16_0_0_4v@rel32@hi+12
	s_mov_b64 s[4:5], s[48:49]
	s_mov_b64 s[6:7], s[38:39]
	;; [unrolled: 1-line block ×3, first 2 shown]
	s_mov_b32 s12, s55
	s_mov_b32 s13, s54
	;; [unrolled: 1-line block ×3, first 2 shown]
	v_mov_b32_e32 v31, v40
	s_swappc_b64 s[30:31], s[0:1]
.LBB2_608:                              ;   in Loop: Header=BB2_82 Depth=1
	s_mov_b64 s[0:1], 0
.LBB2_609:                              ;   in Loop: Header=BB2_82 Depth=1
	s_andn2_b64 vcc, exec, s[0:1]
	s_cbranch_vccnz .LBB2_611
; %bb.610:                              ;   in Loop: Header=BB2_82 Depth=1
	s_add_u32 s8, s36, 0x1000
	s_addc_u32 s9, s37, 0
	s_getpc_b64 s[0:1]
	s_add_u32 s0, s0, _Z50ncclDevFunc_Reduce_RING_SIMPLE_PreMulSum_u64_0_0_4v@rel32@lo+4
	s_addc_u32 s1, s1, _Z50ncclDevFunc_Reduce_RING_SIMPLE_PreMulSum_u64_0_0_4v@rel32@hi+12
	s_mov_b64 s[4:5], s[48:49]
	s_mov_b64 s[6:7], s[38:39]
	;; [unrolled: 1-line block ×3, first 2 shown]
	s_mov_b32 s12, s55
	s_mov_b32 s13, s54
	;; [unrolled: 1-line block ×3, first 2 shown]
	v_mov_b32_e32 v31, v40
	s_swappc_b64 s[30:31], s[0:1]
.LBB2_611:                              ;   in Loop: Header=BB2_82 Depth=1
	s_mov_b64 s[0:1], 0
.LBB2_612:                              ;   in Loop: Header=BB2_82 Depth=1
	s_and_b64 vcc, exec, s[0:1]
	s_cbranch_vccz .LBB2_617
; %bb.613:                              ;   in Loop: Header=BB2_82 Depth=1
	s_cmp_eq_u32 s66, 34
	s_mov_b64 s[0:1], -1
	s_cbranch_scc1 .LBB2_615
; %bb.614:                              ;   in Loop: Header=BB2_82 Depth=1
	s_add_u32 s8, s36, 0x1000
	s_addc_u32 s9, s37, 0
	s_getpc_b64 s[0:1]
	s_add_u32 s0, s0, _Z49ncclDevFunc_Reduce_RING_SIMPLE_PreMulSum_u8_0_0_4v@rel32@lo+4
	s_addc_u32 s1, s1, _Z49ncclDevFunc_Reduce_RING_SIMPLE_PreMulSum_u8_0_0_4v@rel32@hi+12
	s_mov_b64 s[4:5], s[48:49]
	s_mov_b64 s[6:7], s[38:39]
	s_mov_b64 s[10:11], s[34:35]
	s_mov_b32 s12, s55
	s_mov_b32 s13, s54
	;; [unrolled: 1-line block ×3, first 2 shown]
	v_mov_b32_e32 v31, v40
	s_swappc_b64 s[30:31], s[0:1]
	s_mov_b64 s[0:1], 0
.LBB2_615:                              ;   in Loop: Header=BB2_82 Depth=1
	s_andn2_b64 vcc, exec, s[0:1]
	s_cbranch_vccnz .LBB2_617
; %bb.616:                              ;   in Loop: Header=BB2_82 Depth=1
	s_add_u32 s8, s36, 0x1000
	s_addc_u32 s9, s37, 0
	s_getpc_b64 s[0:1]
	s_add_u32 s0, s0, _Z50ncclDevFunc_Reduce_RING_SIMPLE_PreMulSum_u32_0_0_4v@rel32@lo+4
	s_addc_u32 s1, s1, _Z50ncclDevFunc_Reduce_RING_SIMPLE_PreMulSum_u32_0_0_4v@rel32@hi+12
	s_mov_b64 s[4:5], s[48:49]
	s_mov_b64 s[6:7], s[38:39]
	;; [unrolled: 1-line block ×3, first 2 shown]
	s_mov_b32 s12, s55
	s_mov_b32 s13, s54
	;; [unrolled: 1-line block ×3, first 2 shown]
	v_mov_b32_e32 v31, v40
	s_swappc_b64 s[30:31], s[0:1]
.LBB2_617:                              ;   in Loop: Header=BB2_82 Depth=1
	s_mov_b64 s[0:1], 0
.LBB2_618:                              ;   in Loop: Header=BB2_82 Depth=1
	s_andn2_b64 vcc, exec, s[0:1]
	s_cbranch_vccnz .LBB2_656
; %bb.619:                              ;   in Loop: Header=BB2_82 Depth=1
	s_cmp_gt_u32 s66, 26
	s_mov_b64 s[0:1], -1
	s_cbranch_scc0 .LBB2_640
; %bb.620:                              ;   in Loop: Header=BB2_82 Depth=1
	s_cmp_gt_u32 s66, 29
	s_cbranch_scc0 .LBB2_630
; %bb.621:                              ;   in Loop: Header=BB2_82 Depth=1
	s_sext_i32_i16 s0, s80
	s_cmp_lt_i32 s0, 31
	s_mov_b64 s[0:1], -1
	s_cbranch_scc1 .LBB2_627
; %bb.622:                              ;   in Loop: Header=BB2_82 Depth=1
	s_cmp_lg_u32 s66, 31
	s_cbranch_scc0 .LBB2_624
; %bb.623:                              ;   in Loop: Header=BB2_82 Depth=1
	s_add_u32 s8, s36, 0x1000
	s_addc_u32 s9, s37, 0
	s_getpc_b64 s[0:1]
	s_add_u32 s0, s0, _Z50ncclDevFunc_Reduce_RING_SIMPLE_MinMax_f8e5m2_0_0_4v@rel32@lo+4
	s_addc_u32 s1, s1, _Z50ncclDevFunc_Reduce_RING_SIMPLE_MinMax_f8e5m2_0_0_4v@rel32@hi+12
	s_mov_b64 s[4:5], s[48:49]
	s_mov_b64 s[6:7], s[38:39]
	;; [unrolled: 1-line block ×3, first 2 shown]
	s_mov_b32 s12, s55
	s_mov_b32 s13, s54
	;; [unrolled: 1-line block ×3, first 2 shown]
	v_mov_b32_e32 v31, v40
	s_swappc_b64 s[30:31], s[0:1]
	s_mov_b64 s[0:1], 0
.LBB2_624:                              ;   in Loop: Header=BB2_82 Depth=1
	s_andn2_b64 vcc, exec, s[0:1]
	s_cbranch_vccnz .LBB2_626
; %bb.625:                              ;   in Loop: Header=BB2_82 Depth=1
	s_add_u32 s8, s36, 0x1000
	s_addc_u32 s9, s37, 0
	s_getpc_b64 s[0:1]
	s_add_u32 s0, s0, _Z50ncclDevFunc_Reduce_RING_SIMPLE_MinMax_f8e4m3_0_0_4v@rel32@lo+4
	s_addc_u32 s1, s1, _Z50ncclDevFunc_Reduce_RING_SIMPLE_MinMax_f8e4m3_0_0_4v@rel32@hi+12
	s_mov_b64 s[4:5], s[48:49]
	s_mov_b64 s[6:7], s[38:39]
	;; [unrolled: 1-line block ×3, first 2 shown]
	s_mov_b32 s12, s55
	s_mov_b32 s13, s54
	;; [unrolled: 1-line block ×3, first 2 shown]
	v_mov_b32_e32 v31, v40
	s_swappc_b64 s[30:31], s[0:1]
.LBB2_626:                              ;   in Loop: Header=BB2_82 Depth=1
	s_mov_b64 s[0:1], 0
.LBB2_627:                              ;   in Loop: Header=BB2_82 Depth=1
	s_andn2_b64 vcc, exec, s[0:1]
	s_cbranch_vccnz .LBB2_629
; %bb.628:                              ;   in Loop: Header=BB2_82 Depth=1
	s_add_u32 s8, s36, 0x1000
	s_addc_u32 s9, s37, 0
	s_getpc_b64 s[0:1]
	s_add_u32 s0, s0, _Z48ncclDevFunc_Reduce_RING_SIMPLE_MinMax_bf16_0_1_4v@rel32@lo+4
	s_addc_u32 s1, s1, _Z48ncclDevFunc_Reduce_RING_SIMPLE_MinMax_bf16_0_1_4v@rel32@hi+12
	s_mov_b64 s[4:5], s[48:49]
	s_mov_b64 s[6:7], s[38:39]
	;; [unrolled: 1-line block ×3, first 2 shown]
	s_mov_b32 s12, s55
	s_mov_b32 s13, s54
	;; [unrolled: 1-line block ×3, first 2 shown]
	v_mov_b32_e32 v31, v40
	s_swappc_b64 s[30:31], s[0:1]
.LBB2_629:                              ;   in Loop: Header=BB2_82 Depth=1
	s_mov_b64 s[0:1], 0
.LBB2_630:                              ;   in Loop: Header=BB2_82 Depth=1
	s_and_b64 vcc, exec, s[0:1]
	s_cbranch_vccz .LBB2_639
; %bb.631:                              ;   in Loop: Header=BB2_82 Depth=1
	s_sext_i32_i16 s0, s80
	s_cmp_lt_i32 s0, 28
	s_mov_b64 s[0:1], -1
	s_cbranch_scc1 .LBB2_637
; %bb.632:                              ;   in Loop: Header=BB2_82 Depth=1
	s_cmp_lg_u32 s66, 28
	s_cbranch_scc0 .LBB2_634
; %bb.633:                              ;   in Loop: Header=BB2_82 Depth=1
	s_add_u32 s8, s36, 0x1000
	s_addc_u32 s9, s37, 0
	s_getpc_b64 s[0:1]
	s_add_u32 s0, s0, _Z48ncclDevFunc_Reduce_RING_SIMPLE_MinMax_bf16_0_0_4v@rel32@lo+4
	s_addc_u32 s1, s1, _Z48ncclDevFunc_Reduce_RING_SIMPLE_MinMax_bf16_0_0_4v@rel32@hi+12
	s_mov_b64 s[4:5], s[48:49]
	s_mov_b64 s[6:7], s[38:39]
	;; [unrolled: 1-line block ×3, first 2 shown]
	s_mov_b32 s12, s55
	s_mov_b32 s13, s54
	;; [unrolled: 1-line block ×3, first 2 shown]
	v_mov_b32_e32 v31, v40
	s_swappc_b64 s[30:31], s[0:1]
	s_mov_b64 s[0:1], 0
.LBB2_634:                              ;   in Loop: Header=BB2_82 Depth=1
	s_andn2_b64 vcc, exec, s[0:1]
	s_cbranch_vccnz .LBB2_636
; %bb.635:                              ;   in Loop: Header=BB2_82 Depth=1
	s_add_u32 s8, s36, 0x1000
	s_addc_u32 s9, s37, 0
	s_getpc_b64 s[0:1]
	s_add_u32 s0, s0, _Z47ncclDevFunc_Reduce_RING_SIMPLE_MinMax_f64_0_0_4v@rel32@lo+4
	s_addc_u32 s1, s1, _Z47ncclDevFunc_Reduce_RING_SIMPLE_MinMax_f64_0_0_4v@rel32@hi+12
	s_mov_b64 s[4:5], s[48:49]
	s_mov_b64 s[6:7], s[38:39]
	;; [unrolled: 1-line block ×3, first 2 shown]
	s_mov_b32 s12, s55
	s_mov_b32 s13, s54
	;; [unrolled: 1-line block ×3, first 2 shown]
	v_mov_b32_e32 v31, v40
	s_swappc_b64 s[30:31], s[0:1]
.LBB2_636:                              ;   in Loop: Header=BB2_82 Depth=1
	s_mov_b64 s[0:1], 0
.LBB2_637:                              ;   in Loop: Header=BB2_82 Depth=1
	s_andn2_b64 vcc, exec, s[0:1]
	s_cbranch_vccnz .LBB2_639
; %bb.638:                              ;   in Loop: Header=BB2_82 Depth=1
	s_add_u32 s8, s36, 0x1000
	s_addc_u32 s9, s37, 0
	s_getpc_b64 s[0:1]
	s_add_u32 s0, s0, _Z47ncclDevFunc_Reduce_RING_SIMPLE_MinMax_f32_0_0_4v@rel32@lo+4
	s_addc_u32 s1, s1, _Z47ncclDevFunc_Reduce_RING_SIMPLE_MinMax_f32_0_0_4v@rel32@hi+12
	s_mov_b64 s[4:5], s[48:49]
	s_mov_b64 s[6:7], s[38:39]
	s_mov_b64 s[10:11], s[34:35]
	s_mov_b32 s12, s55
	s_mov_b32 s13, s54
	;; [unrolled: 1-line block ×3, first 2 shown]
	v_mov_b32_e32 v31, v40
	s_swappc_b64 s[30:31], s[0:1]
.LBB2_639:                              ;   in Loop: Header=BB2_82 Depth=1
	s_mov_b64 s[0:1], 0
.LBB2_640:                              ;   in Loop: Header=BB2_82 Depth=1
	s_andn2_b64 vcc, exec, s[0:1]
	s_cbranch_vccnz .LBB2_656
; %bb.641:                              ;   in Loop: Header=BB2_82 Depth=1
	s_cmp_gt_u32 s66, 23
	s_mov_b64 s[0:1], -1
	s_cbranch_scc0 .LBB2_651
; %bb.642:                              ;   in Loop: Header=BB2_82 Depth=1
	s_sext_i32_i16 s0, s80
	s_cmp_lt_i32 s0, 25
	s_mov_b64 s[0:1], -1
	s_cbranch_scc1 .LBB2_648
; %bb.643:                              ;   in Loop: Header=BB2_82 Depth=1
	s_cmp_lg_u32 s66, 25
	s_cbranch_scc0 .LBB2_645
; %bb.644:                              ;   in Loop: Header=BB2_82 Depth=1
	s_add_u32 s8, s36, 0x1000
	s_addc_u32 s9, s37, 0
	s_getpc_b64 s[0:1]
	s_add_u32 s0, s0, _Z47ncclDevFunc_Reduce_RING_SIMPLE_MinMax_f16_0_0_4v@rel32@lo+4
	s_addc_u32 s1, s1, _Z47ncclDevFunc_Reduce_RING_SIMPLE_MinMax_f16_0_0_4v@rel32@hi+12
	s_mov_b64 s[4:5], s[48:49]
	s_mov_b64 s[6:7], s[38:39]
	;; [unrolled: 1-line block ×3, first 2 shown]
	s_mov_b32 s12, s55
	s_mov_b32 s13, s54
	;; [unrolled: 1-line block ×3, first 2 shown]
	v_mov_b32_e32 v31, v40
	s_swappc_b64 s[30:31], s[0:1]
	s_mov_b64 s[0:1], 0
.LBB2_645:                              ;   in Loop: Header=BB2_82 Depth=1
	s_andn2_b64 vcc, exec, s[0:1]
	s_cbranch_vccnz .LBB2_647
; %bb.646:                              ;   in Loop: Header=BB2_82 Depth=1
	s_add_u32 s8, s36, 0x1000
	s_addc_u32 s9, s37, 0
	s_getpc_b64 s[0:1]
	s_add_u32 s0, s0, _Z47ncclDevFunc_Reduce_RING_SIMPLE_MinMax_u64_0_0_4v@rel32@lo+4
	s_addc_u32 s1, s1, _Z47ncclDevFunc_Reduce_RING_SIMPLE_MinMax_u64_0_0_4v@rel32@hi+12
	s_mov_b64 s[4:5], s[48:49]
	s_mov_b64 s[6:7], s[38:39]
	;; [unrolled: 1-line block ×3, first 2 shown]
	s_mov_b32 s12, s55
	s_mov_b32 s13, s54
	;; [unrolled: 1-line block ×3, first 2 shown]
	v_mov_b32_e32 v31, v40
	s_swappc_b64 s[30:31], s[0:1]
.LBB2_647:                              ;   in Loop: Header=BB2_82 Depth=1
	s_mov_b64 s[0:1], 0
.LBB2_648:                              ;   in Loop: Header=BB2_82 Depth=1
	s_andn2_b64 vcc, exec, s[0:1]
	s_cbranch_vccnz .LBB2_650
; %bb.649:                              ;   in Loop: Header=BB2_82 Depth=1
	s_add_u32 s8, s36, 0x1000
	s_addc_u32 s9, s37, 0
	s_getpc_b64 s[0:1]
	s_add_u32 s0, s0, _Z47ncclDevFunc_Reduce_RING_SIMPLE_MinMax_u32_0_0_4v@rel32@lo+4
	s_addc_u32 s1, s1, _Z47ncclDevFunc_Reduce_RING_SIMPLE_MinMax_u32_0_0_4v@rel32@hi+12
	s_mov_b64 s[4:5], s[48:49]
	s_mov_b64 s[6:7], s[38:39]
	;; [unrolled: 1-line block ×3, first 2 shown]
	s_mov_b32 s12, s55
	s_mov_b32 s13, s54
	;; [unrolled: 1-line block ×3, first 2 shown]
	v_mov_b32_e32 v31, v40
	s_swappc_b64 s[30:31], s[0:1]
.LBB2_650:                              ;   in Loop: Header=BB2_82 Depth=1
	s_mov_b64 s[0:1], 0
.LBB2_651:                              ;   in Loop: Header=BB2_82 Depth=1
	s_and_b64 vcc, exec, s[0:1]
	s_cbranch_vccz .LBB2_656
; %bb.652:                              ;   in Loop: Header=BB2_82 Depth=1
	s_cmp_eq_u32 s66, 23
	s_mov_b64 s[0:1], -1
	s_cbranch_scc1 .LBB2_654
; %bb.653:                              ;   in Loop: Header=BB2_82 Depth=1
	s_add_u32 s8, s36, 0x1000
	s_addc_u32 s9, s37, 0
	s_getpc_b64 s[0:1]
	s_add_u32 s0, s0, _Z48ncclDevFunc_Reduce_RING_SIMPLE_Prod_f8e5m2_0_0_4v@rel32@lo+4
	s_addc_u32 s1, s1, _Z48ncclDevFunc_Reduce_RING_SIMPLE_Prod_f8e5m2_0_0_4v@rel32@hi+12
	s_mov_b64 s[4:5], s[48:49]
	s_mov_b64 s[6:7], s[38:39]
	;; [unrolled: 1-line block ×3, first 2 shown]
	s_mov_b32 s12, s55
	s_mov_b32 s13, s54
	;; [unrolled: 1-line block ×3, first 2 shown]
	v_mov_b32_e32 v31, v40
	s_swappc_b64 s[30:31], s[0:1]
	s_mov_b64 s[0:1], 0
.LBB2_654:                              ;   in Loop: Header=BB2_82 Depth=1
	s_andn2_b64 vcc, exec, s[0:1]
	s_cbranch_vccnz .LBB2_656
; %bb.655:                              ;   in Loop: Header=BB2_82 Depth=1
	s_add_u32 s8, s36, 0x1000
	s_addc_u32 s9, s37, 0
	s_getpc_b64 s[0:1]
	s_add_u32 s0, s0, _Z46ncclDevFunc_Reduce_RING_SIMPLE_MinMax_u8_0_0_4v@rel32@lo+4
	s_addc_u32 s1, s1, _Z46ncclDevFunc_Reduce_RING_SIMPLE_MinMax_u8_0_0_4v@rel32@hi+12
	s_mov_b64 s[4:5], s[48:49]
	s_mov_b64 s[6:7], s[38:39]
	;; [unrolled: 1-line block ×3, first 2 shown]
	s_mov_b32 s12, s55
	s_mov_b32 s13, s54
	;; [unrolled: 1-line block ×3, first 2 shown]
	v_mov_b32_e32 v31, v40
	s_swappc_b64 s[30:31], s[0:1]
.LBB2_656:                              ;   in Loop: Header=BB2_82 Depth=1
	s_mov_b64 s[0:1], 0
.LBB2_657:                              ;   in Loop: Header=BB2_82 Depth=1
	s_andn2_b64 vcc, exec, s[0:1]
	s_cbranch_vccnz .LBB2_732
; %bb.658:                              ;   in Loop: Header=BB2_82 Depth=1
	s_cmp_gt_u32 s66, 10
	s_mov_b64 s[0:1], -1
	s_cbranch_scc0 .LBB2_697
; %bb.659:                              ;   in Loop: Header=BB2_82 Depth=1
	s_cmp_gt_u32 s66, 15
	s_cbranch_scc0 .LBB2_680
; %bb.660:                              ;   in Loop: Header=BB2_82 Depth=1
	s_cmp_gt_u32 s66, 18
	s_cbranch_scc0 .LBB2_670
; %bb.661:                              ;   in Loop: Header=BB2_82 Depth=1
	s_sext_i32_i16 s0, s80
	s_cmp_lt_i32 s0, 20
	s_mov_b64 s[0:1], -1
	s_cbranch_scc1 .LBB2_667
; %bb.662:                              ;   in Loop: Header=BB2_82 Depth=1
	s_cmp_lg_u32 s66, 20
	s_cbranch_scc0 .LBB2_664
; %bb.663:                              ;   in Loop: Header=BB2_82 Depth=1
	s_add_u32 s8, s36, 0x1000
	s_addc_u32 s9, s37, 0
	s_getpc_b64 s[0:1]
	s_add_u32 s0, s0, _Z48ncclDevFunc_Reduce_RING_SIMPLE_Prod_f8e4m3_0_0_4v@rel32@lo+4
	s_addc_u32 s1, s1, _Z48ncclDevFunc_Reduce_RING_SIMPLE_Prod_f8e4m3_0_0_4v@rel32@hi+12
	s_mov_b64 s[4:5], s[48:49]
	s_mov_b64 s[6:7], s[38:39]
	;; [unrolled: 1-line block ×3, first 2 shown]
	s_mov_b32 s12, s55
	s_mov_b32 s13, s54
	;; [unrolled: 1-line block ×3, first 2 shown]
	v_mov_b32_e32 v31, v40
	s_swappc_b64 s[30:31], s[0:1]
	s_mov_b64 s[0:1], 0
.LBB2_664:                              ;   in Loop: Header=BB2_82 Depth=1
	s_andn2_b64 vcc, exec, s[0:1]
	s_cbranch_vccnz .LBB2_666
; %bb.665:                              ;   in Loop: Header=BB2_82 Depth=1
	s_add_u32 s8, s36, 0x1000
	s_addc_u32 s9, s37, 0
	s_getpc_b64 s[0:1]
	s_add_u32 s0, s0, _Z46ncclDevFunc_Reduce_RING_SIMPLE_Prod_bf16_0_1_4v@rel32@lo+4
	s_addc_u32 s1, s1, _Z46ncclDevFunc_Reduce_RING_SIMPLE_Prod_bf16_0_1_4v@rel32@hi+12
	s_mov_b64 s[4:5], s[48:49]
	s_mov_b64 s[6:7], s[38:39]
	s_mov_b64 s[10:11], s[34:35]
	s_mov_b32 s12, s55
	s_mov_b32 s13, s54
	;; [unrolled: 1-line block ×3, first 2 shown]
	v_mov_b32_e32 v31, v40
	s_swappc_b64 s[30:31], s[0:1]
.LBB2_666:                              ;   in Loop: Header=BB2_82 Depth=1
	s_mov_b64 s[0:1], 0
.LBB2_667:                              ;   in Loop: Header=BB2_82 Depth=1
	s_andn2_b64 vcc, exec, s[0:1]
	s_cbranch_vccnz .LBB2_669
; %bb.668:                              ;   in Loop: Header=BB2_82 Depth=1
	s_add_u32 s8, s36, 0x1000
	s_addc_u32 s9, s37, 0
	s_getpc_b64 s[0:1]
	s_add_u32 s0, s0, _Z46ncclDevFunc_Reduce_RING_SIMPLE_Prod_bf16_0_0_4v@rel32@lo+4
	s_addc_u32 s1, s1, _Z46ncclDevFunc_Reduce_RING_SIMPLE_Prod_bf16_0_0_4v@rel32@hi+12
	s_mov_b64 s[4:5], s[48:49]
	s_mov_b64 s[6:7], s[38:39]
	s_mov_b64 s[10:11], s[34:35]
	s_mov_b32 s12, s55
	s_mov_b32 s13, s54
	;; [unrolled: 1-line block ×3, first 2 shown]
	v_mov_b32_e32 v31, v40
	s_swappc_b64 s[30:31], s[0:1]
.LBB2_669:                              ;   in Loop: Header=BB2_82 Depth=1
	s_mov_b64 s[0:1], 0
.LBB2_670:                              ;   in Loop: Header=BB2_82 Depth=1
	s_and_b64 vcc, exec, s[0:1]
	s_cbranch_vccz .LBB2_679
; %bb.671:                              ;   in Loop: Header=BB2_82 Depth=1
	s_sext_i32_i16 s0, s80
	s_cmp_lt_i32 s0, 17
	s_mov_b64 s[0:1], -1
	s_cbranch_scc1 .LBB2_677
; %bb.672:                              ;   in Loop: Header=BB2_82 Depth=1
	s_cmp_lg_u32 s66, 17
	s_cbranch_scc0 .LBB2_674
; %bb.673:                              ;   in Loop: Header=BB2_82 Depth=1
	s_add_u32 s8, s36, 0x1000
	s_addc_u32 s9, s37, 0
	s_getpc_b64 s[0:1]
	s_add_u32 s0, s0, _Z45ncclDevFunc_Reduce_RING_SIMPLE_Prod_f64_0_0_4v@rel32@lo+4
	s_addc_u32 s1, s1, _Z45ncclDevFunc_Reduce_RING_SIMPLE_Prod_f64_0_0_4v@rel32@hi+12
	s_mov_b64 s[4:5], s[48:49]
	s_mov_b64 s[6:7], s[38:39]
	;; [unrolled: 1-line block ×3, first 2 shown]
	s_mov_b32 s12, s55
	s_mov_b32 s13, s54
	s_mov_b32 s14, s33
	v_mov_b32_e32 v31, v40
	s_swappc_b64 s[30:31], s[0:1]
	s_mov_b64 s[0:1], 0
.LBB2_674:                              ;   in Loop: Header=BB2_82 Depth=1
	s_andn2_b64 vcc, exec, s[0:1]
	s_cbranch_vccnz .LBB2_676
; %bb.675:                              ;   in Loop: Header=BB2_82 Depth=1
	s_add_u32 s8, s36, 0x1000
	s_addc_u32 s9, s37, 0
	s_getpc_b64 s[0:1]
	s_add_u32 s0, s0, _Z45ncclDevFunc_Reduce_RING_SIMPLE_Prod_f32_0_0_4v@rel32@lo+4
	s_addc_u32 s1, s1, _Z45ncclDevFunc_Reduce_RING_SIMPLE_Prod_f32_0_0_4v@rel32@hi+12
	s_mov_b64 s[4:5], s[48:49]
	s_mov_b64 s[6:7], s[38:39]
	;; [unrolled: 1-line block ×3, first 2 shown]
	s_mov_b32 s12, s55
	s_mov_b32 s13, s54
	s_mov_b32 s14, s33
	v_mov_b32_e32 v31, v40
	s_swappc_b64 s[30:31], s[0:1]
.LBB2_676:                              ;   in Loop: Header=BB2_82 Depth=1
	s_mov_b64 s[0:1], 0
.LBB2_677:                              ;   in Loop: Header=BB2_82 Depth=1
	s_andn2_b64 vcc, exec, s[0:1]
	s_cbranch_vccnz .LBB2_679
; %bb.678:                              ;   in Loop: Header=BB2_82 Depth=1
	s_add_u32 s8, s36, 0x1000
	s_addc_u32 s9, s37, 0
	s_getpc_b64 s[0:1]
	s_add_u32 s0, s0, _Z45ncclDevFunc_Reduce_RING_SIMPLE_Prod_f16_0_0_4v@rel32@lo+4
	s_addc_u32 s1, s1, _Z45ncclDevFunc_Reduce_RING_SIMPLE_Prod_f16_0_0_4v@rel32@hi+12
	s_mov_b64 s[4:5], s[48:49]
	s_mov_b64 s[6:7], s[38:39]
	;; [unrolled: 1-line block ×3, first 2 shown]
	s_mov_b32 s12, s55
	s_mov_b32 s13, s54
	;; [unrolled: 1-line block ×3, first 2 shown]
	v_mov_b32_e32 v31, v40
	s_swappc_b64 s[30:31], s[0:1]
.LBB2_679:                              ;   in Loop: Header=BB2_82 Depth=1
	s_mov_b64 s[0:1], 0
.LBB2_680:                              ;   in Loop: Header=BB2_82 Depth=1
	s_andn2_b64 vcc, exec, s[0:1]
	s_cbranch_vccnz .LBB2_696
; %bb.681:                              ;   in Loop: Header=BB2_82 Depth=1
	s_cmp_gt_u32 s66, 12
	s_mov_b64 s[0:1], -1
	s_cbranch_scc0 .LBB2_691
; %bb.682:                              ;   in Loop: Header=BB2_82 Depth=1
	s_sext_i32_i16 s0, s80
	s_cmp_lt_i32 s0, 14
	s_mov_b64 s[0:1], -1
	s_cbranch_scc1 .LBB2_688
; %bb.683:                              ;   in Loop: Header=BB2_82 Depth=1
	s_cmp_lg_u32 s66, 14
	s_cbranch_scc0 .LBB2_685
; %bb.684:                              ;   in Loop: Header=BB2_82 Depth=1
	s_add_u32 s8, s36, 0x1000
	s_addc_u32 s9, s37, 0
	s_getpc_b64 s[0:1]
	s_add_u32 s0, s0, _Z45ncclDevFunc_Reduce_RING_SIMPLE_Prod_u64_0_0_4v@rel32@lo+4
	s_addc_u32 s1, s1, _Z45ncclDevFunc_Reduce_RING_SIMPLE_Prod_u64_0_0_4v@rel32@hi+12
	s_mov_b64 s[4:5], s[48:49]
	s_mov_b64 s[6:7], s[38:39]
	;; [unrolled: 1-line block ×3, first 2 shown]
	s_mov_b32 s12, s55
	s_mov_b32 s13, s54
	;; [unrolled: 1-line block ×3, first 2 shown]
	v_mov_b32_e32 v31, v40
	s_swappc_b64 s[30:31], s[0:1]
	s_mov_b64 s[0:1], 0
.LBB2_685:                              ;   in Loop: Header=BB2_82 Depth=1
	s_andn2_b64 vcc, exec, s[0:1]
	s_cbranch_vccnz .LBB2_687
; %bb.686:                              ;   in Loop: Header=BB2_82 Depth=1
	s_add_u32 s8, s36, 0x1000
	s_addc_u32 s9, s37, 0
	s_getpc_b64 s[0:1]
	s_add_u32 s0, s0, _Z45ncclDevFunc_Reduce_RING_SIMPLE_Prod_u32_0_0_4v@rel32@lo+4
	s_addc_u32 s1, s1, _Z45ncclDevFunc_Reduce_RING_SIMPLE_Prod_u32_0_0_4v@rel32@hi+12
	s_mov_b64 s[4:5], s[48:49]
	s_mov_b64 s[6:7], s[38:39]
	;; [unrolled: 1-line block ×3, first 2 shown]
	s_mov_b32 s12, s55
	s_mov_b32 s13, s54
	;; [unrolled: 1-line block ×3, first 2 shown]
	v_mov_b32_e32 v31, v40
	s_swappc_b64 s[30:31], s[0:1]
.LBB2_687:                              ;   in Loop: Header=BB2_82 Depth=1
	s_mov_b64 s[0:1], 0
.LBB2_688:                              ;   in Loop: Header=BB2_82 Depth=1
	s_andn2_b64 vcc, exec, s[0:1]
	s_cbranch_vccnz .LBB2_690
; %bb.689:                              ;   in Loop: Header=BB2_82 Depth=1
	s_add_u32 s8, s36, 0x1000
	s_addc_u32 s9, s37, 0
	s_getpc_b64 s[0:1]
	s_add_u32 s0, s0, _Z44ncclDevFunc_Reduce_RING_SIMPLE_Prod_u8_0_0_4v@rel32@lo+4
	s_addc_u32 s1, s1, _Z44ncclDevFunc_Reduce_RING_SIMPLE_Prod_u8_0_0_4v@rel32@hi+12
	s_mov_b64 s[4:5], s[48:49]
	s_mov_b64 s[6:7], s[38:39]
	;; [unrolled: 1-line block ×3, first 2 shown]
	s_mov_b32 s12, s55
	s_mov_b32 s13, s54
	;; [unrolled: 1-line block ×3, first 2 shown]
	v_mov_b32_e32 v31, v40
	s_swappc_b64 s[30:31], s[0:1]
.LBB2_690:                              ;   in Loop: Header=BB2_82 Depth=1
	s_mov_b64 s[0:1], 0
.LBB2_691:                              ;   in Loop: Header=BB2_82 Depth=1
	s_and_b64 vcc, exec, s[0:1]
	s_cbranch_vccz .LBB2_696
; %bb.692:                              ;   in Loop: Header=BB2_82 Depth=1
	s_cmp_eq_u32 s66, 12
	s_mov_b64 s[0:1], -1
	s_cbranch_scc1 .LBB2_694
; %bb.693:                              ;   in Loop: Header=BB2_82 Depth=1
	s_add_u32 s8, s36, 0x1000
	s_addc_u32 s9, s37, 0
	s_getpc_b64 s[0:1]
	s_add_u32 s0, s0, _Z47ncclDevFunc_Reduce_RING_SIMPLE_Sum_f8e4m3_0_0_4v@rel32@lo+4
	s_addc_u32 s1, s1, _Z47ncclDevFunc_Reduce_RING_SIMPLE_Sum_f8e4m3_0_0_4v@rel32@hi+12
	s_mov_b64 s[4:5], s[48:49]
	s_mov_b64 s[6:7], s[38:39]
	;; [unrolled: 1-line block ×3, first 2 shown]
	s_mov_b32 s12, s55
	s_mov_b32 s13, s54
	s_mov_b32 s14, s33
	v_mov_b32_e32 v31, v40
	s_swappc_b64 s[30:31], s[0:1]
	s_mov_b64 s[0:1], 0
.LBB2_694:                              ;   in Loop: Header=BB2_82 Depth=1
	s_andn2_b64 vcc, exec, s[0:1]
	s_cbranch_vccnz .LBB2_696
; %bb.695:                              ;   in Loop: Header=BB2_82 Depth=1
	s_add_u32 s8, s36, 0x1000
	s_addc_u32 s9, s37, 0
	s_getpc_b64 s[0:1]
	s_add_u32 s0, s0, _Z47ncclDevFunc_Reduce_RING_SIMPLE_Sum_f8e5m2_0_0_4v@rel32@lo+4
	s_addc_u32 s1, s1, _Z47ncclDevFunc_Reduce_RING_SIMPLE_Sum_f8e5m2_0_0_4v@rel32@hi+12
	s_mov_b64 s[4:5], s[48:49]
	s_mov_b64 s[6:7], s[38:39]
	;; [unrolled: 1-line block ×3, first 2 shown]
	s_mov_b32 s12, s55
	s_mov_b32 s13, s54
	;; [unrolled: 1-line block ×3, first 2 shown]
	v_mov_b32_e32 v31, v40
	s_swappc_b64 s[30:31], s[0:1]
.LBB2_696:                              ;   in Loop: Header=BB2_82 Depth=1
	s_mov_b64 s[0:1], 0
.LBB2_697:                              ;   in Loop: Header=BB2_82 Depth=1
	s_andn2_b64 vcc, exec, s[0:1]
	s_cbranch_vccnz .LBB2_732
; %bb.698:                              ;   in Loop: Header=BB2_82 Depth=1
	s_cmp_gt_u32 s66, 4
	s_mov_b64 s[0:1], -1
	s_cbranch_scc0 .LBB2_719
; %bb.699:                              ;   in Loop: Header=BB2_82 Depth=1
	s_cmp_gt_u32 s66, 7
	s_cbranch_scc0 .LBB2_709
; %bb.700:                              ;   in Loop: Header=BB2_82 Depth=1
	s_sext_i32_i16 s0, s80
	s_cmp_lt_i32 s0, 9
	s_mov_b64 s[0:1], -1
	s_cbranch_scc1 .LBB2_706
; %bb.701:                              ;   in Loop: Header=BB2_82 Depth=1
	s_cmp_lg_u32 s66, 9
	s_cbranch_scc0 .LBB2_703
; %bb.702:                              ;   in Loop: Header=BB2_82 Depth=1
	s_add_u32 s8, s36, 0x1000
	s_addc_u32 s9, s37, 0
	s_getpc_b64 s[0:1]
	s_add_u32 s0, s0, _Z45ncclDevFunc_Reduce_RING_SIMPLE_Sum_bf16_0_1_4v@rel32@lo+4
	s_addc_u32 s1, s1, _Z45ncclDevFunc_Reduce_RING_SIMPLE_Sum_bf16_0_1_4v@rel32@hi+12
	s_mov_b64 s[4:5], s[48:49]
	s_mov_b64 s[6:7], s[38:39]
	;; [unrolled: 1-line block ×3, first 2 shown]
	s_mov_b32 s12, s55
	s_mov_b32 s13, s54
	;; [unrolled: 1-line block ×3, first 2 shown]
	v_mov_b32_e32 v31, v40
	s_swappc_b64 s[30:31], s[0:1]
	s_mov_b64 s[0:1], 0
.LBB2_703:                              ;   in Loop: Header=BB2_82 Depth=1
	s_andn2_b64 vcc, exec, s[0:1]
	s_cbranch_vccnz .LBB2_705
; %bb.704:                              ;   in Loop: Header=BB2_82 Depth=1
	s_add_u32 s8, s36, 0x1000
	s_addc_u32 s9, s37, 0
	s_getpc_b64 s[0:1]
	s_add_u32 s0, s0, _Z45ncclDevFunc_Reduce_RING_SIMPLE_Sum_bf16_0_0_4v@rel32@lo+4
	s_addc_u32 s1, s1, _Z45ncclDevFunc_Reduce_RING_SIMPLE_Sum_bf16_0_0_4v@rel32@hi+12
	s_mov_b64 s[4:5], s[48:49]
	s_mov_b64 s[6:7], s[38:39]
	;; [unrolled: 1-line block ×3, first 2 shown]
	s_mov_b32 s12, s55
	s_mov_b32 s13, s54
	;; [unrolled: 1-line block ×3, first 2 shown]
	v_mov_b32_e32 v31, v40
	s_swappc_b64 s[30:31], s[0:1]
.LBB2_705:                              ;   in Loop: Header=BB2_82 Depth=1
	s_mov_b64 s[0:1], 0
.LBB2_706:                              ;   in Loop: Header=BB2_82 Depth=1
	s_andn2_b64 vcc, exec, s[0:1]
	s_cbranch_vccnz .LBB2_708
; %bb.707:                              ;   in Loop: Header=BB2_82 Depth=1
	s_add_u32 s8, s36, 0x1000
	s_addc_u32 s9, s37, 0
	s_getpc_b64 s[0:1]
	s_add_u32 s0, s0, _Z44ncclDevFunc_Reduce_RING_SIMPLE_Sum_f64_0_0_4v@rel32@lo+4
	s_addc_u32 s1, s1, _Z44ncclDevFunc_Reduce_RING_SIMPLE_Sum_f64_0_0_4v@rel32@hi+12
	s_mov_b64 s[4:5], s[48:49]
	s_mov_b64 s[6:7], s[38:39]
	;; [unrolled: 1-line block ×3, first 2 shown]
	s_mov_b32 s12, s55
	s_mov_b32 s13, s54
	;; [unrolled: 1-line block ×3, first 2 shown]
	v_mov_b32_e32 v31, v40
	s_swappc_b64 s[30:31], s[0:1]
.LBB2_708:                              ;   in Loop: Header=BB2_82 Depth=1
	s_mov_b64 s[0:1], 0
.LBB2_709:                              ;   in Loop: Header=BB2_82 Depth=1
	s_and_b64 vcc, exec, s[0:1]
	s_cbranch_vccz .LBB2_718
; %bb.710:                              ;   in Loop: Header=BB2_82 Depth=1
	s_sext_i32_i16 s0, s80
	s_cmp_lt_i32 s0, 6
	s_mov_b64 s[0:1], -1
	s_cbranch_scc1 .LBB2_716
; %bb.711:                              ;   in Loop: Header=BB2_82 Depth=1
	s_cmp_lg_u32 s66, 6
	s_cbranch_scc0 .LBB2_713
; %bb.712:                              ;   in Loop: Header=BB2_82 Depth=1
	s_add_u32 s8, s36, 0x1000
	s_addc_u32 s9, s37, 0
	s_getpc_b64 s[0:1]
	s_add_u32 s0, s0, _Z44ncclDevFunc_Reduce_RING_SIMPLE_Sum_f32_0_0_4v@rel32@lo+4
	s_addc_u32 s1, s1, _Z44ncclDevFunc_Reduce_RING_SIMPLE_Sum_f32_0_0_4v@rel32@hi+12
	s_mov_b64 s[4:5], s[48:49]
	s_mov_b64 s[6:7], s[38:39]
	;; [unrolled: 1-line block ×3, first 2 shown]
	s_mov_b32 s12, s55
	s_mov_b32 s13, s54
	;; [unrolled: 1-line block ×3, first 2 shown]
	v_mov_b32_e32 v31, v40
	s_swappc_b64 s[30:31], s[0:1]
	s_mov_b64 s[0:1], 0
.LBB2_713:                              ;   in Loop: Header=BB2_82 Depth=1
	s_andn2_b64 vcc, exec, s[0:1]
	s_cbranch_vccnz .LBB2_715
; %bb.714:                              ;   in Loop: Header=BB2_82 Depth=1
	s_add_u32 s8, s36, 0x1000
	s_addc_u32 s9, s37, 0
	s_getpc_b64 s[0:1]
	s_add_u32 s0, s0, _Z44ncclDevFunc_Reduce_RING_SIMPLE_Sum_f16_0_0_4v@rel32@lo+4
	s_addc_u32 s1, s1, _Z44ncclDevFunc_Reduce_RING_SIMPLE_Sum_f16_0_0_4v@rel32@hi+12
	s_mov_b64 s[4:5], s[48:49]
	s_mov_b64 s[6:7], s[38:39]
	;; [unrolled: 1-line block ×3, first 2 shown]
	s_mov_b32 s12, s55
	s_mov_b32 s13, s54
	;; [unrolled: 1-line block ×3, first 2 shown]
	v_mov_b32_e32 v31, v40
	s_swappc_b64 s[30:31], s[0:1]
.LBB2_715:                              ;   in Loop: Header=BB2_82 Depth=1
	s_mov_b64 s[0:1], 0
.LBB2_716:                              ;   in Loop: Header=BB2_82 Depth=1
	s_andn2_b64 vcc, exec, s[0:1]
	s_cbranch_vccnz .LBB2_718
; %bb.717:                              ;   in Loop: Header=BB2_82 Depth=1
	s_add_u32 s8, s36, 0x1000
	s_addc_u32 s9, s37, 0
	s_getpc_b64 s[0:1]
	s_add_u32 s0, s0, _Z44ncclDevFunc_Reduce_RING_SIMPLE_Sum_u64_0_0_4v@rel32@lo+4
	s_addc_u32 s1, s1, _Z44ncclDevFunc_Reduce_RING_SIMPLE_Sum_u64_0_0_4v@rel32@hi+12
	s_mov_b64 s[4:5], s[48:49]
	s_mov_b64 s[6:7], s[38:39]
	;; [unrolled: 1-line block ×3, first 2 shown]
	s_mov_b32 s12, s55
	s_mov_b32 s13, s54
	;; [unrolled: 1-line block ×3, first 2 shown]
	v_mov_b32_e32 v31, v40
	s_swappc_b64 s[30:31], s[0:1]
.LBB2_718:                              ;   in Loop: Header=BB2_82 Depth=1
	s_mov_b64 s[0:1], 0
.LBB2_719:                              ;   in Loop: Header=BB2_82 Depth=1
	s_andn2_b64 vcc, exec, s[0:1]
	s_cbranch_vccnz .LBB2_732
; %bb.720:                              ;   in Loop: Header=BB2_82 Depth=1
	s_cmp_gt_u32 s66, 1
	s_mov_b64 s[0:1], -1
	s_cbranch_scc0 .LBB2_730
; %bb.721:                              ;   in Loop: Header=BB2_82 Depth=1
	s_sext_i32_i16 s0, s80
	s_cmp_lt_i32 s0, 3
	s_mov_b64 s[0:1], -1
	s_cbranch_scc1 .LBB2_727
; %bb.722:                              ;   in Loop: Header=BB2_82 Depth=1
	s_cmp_lg_u32 s66, 3
	s_cbranch_scc0 .LBB2_724
; %bb.723:                              ;   in Loop: Header=BB2_82 Depth=1
	s_add_u32 s8, s36, 0x1000
	s_addc_u32 s9, s37, 0
	s_getpc_b64 s[0:1]
	s_add_u32 s0, s0, _Z44ncclDevFunc_Reduce_RING_SIMPLE_Sum_u32_0_0_4v@rel32@lo+4
	s_addc_u32 s1, s1, _Z44ncclDevFunc_Reduce_RING_SIMPLE_Sum_u32_0_0_4v@rel32@hi+12
	s_mov_b64 s[4:5], s[48:49]
	s_mov_b64 s[6:7], s[38:39]
	;; [unrolled: 1-line block ×3, first 2 shown]
	s_mov_b32 s12, s55
	s_mov_b32 s13, s54
	;; [unrolled: 1-line block ×3, first 2 shown]
	v_mov_b32_e32 v31, v40
	s_swappc_b64 s[30:31], s[0:1]
	s_mov_b64 s[0:1], 0
.LBB2_724:                              ;   in Loop: Header=BB2_82 Depth=1
	s_andn2_b64 vcc, exec, s[0:1]
	s_cbranch_vccnz .LBB2_726
; %bb.725:                              ;   in Loop: Header=BB2_82 Depth=1
	s_add_u32 s8, s36, 0x1000
	s_addc_u32 s9, s37, 0
	s_getpc_b64 s[0:1]
	s_add_u32 s0, s0, _Z43ncclDevFunc_Reduce_RING_SIMPLE_Sum_u8_0_0_4v@rel32@lo+4
	s_addc_u32 s1, s1, _Z43ncclDevFunc_Reduce_RING_SIMPLE_Sum_u8_0_0_4v@rel32@hi+12
	s_mov_b64 s[4:5], s[48:49]
	s_mov_b64 s[6:7], s[38:39]
	;; [unrolled: 1-line block ×3, first 2 shown]
	s_mov_b32 s12, s55
	s_mov_b32 s13, s54
	;; [unrolled: 1-line block ×3, first 2 shown]
	v_mov_b32_e32 v31, v40
	s_swappc_b64 s[30:31], s[0:1]
.LBB2_726:                              ;   in Loop: Header=BB2_82 Depth=1
	s_mov_b64 s[0:1], 0
.LBB2_727:                              ;   in Loop: Header=BB2_82 Depth=1
	s_andn2_b64 vcc, exec, s[0:1]
	s_cbranch_vccnz .LBB2_729
; %bb.728:                              ;   in Loop: Header=BB2_82 Depth=1
	s_add_u32 s8, s36, 0x1000
	s_addc_u32 s9, s37, 0
	s_getpc_b64 s[0:1]
	s_add_u32 s0, s0, _Z46ncclDevFunc_Broadcast_RING_SIMPLE_Sum_i8_0_0_4v@rel32@lo+4
	s_addc_u32 s1, s1, _Z46ncclDevFunc_Broadcast_RING_SIMPLE_Sum_i8_0_0_4v@rel32@hi+12
	s_mov_b64 s[4:5], s[48:49]
	s_mov_b64 s[6:7], s[38:39]
	;; [unrolled: 1-line block ×3, first 2 shown]
	s_mov_b32 s12, s55
	s_mov_b32 s13, s54
	;; [unrolled: 1-line block ×3, first 2 shown]
	v_mov_b32_e32 v31, v40
	s_swappc_b64 s[30:31], s[0:1]
.LBB2_729:                              ;   in Loop: Header=BB2_82 Depth=1
	s_mov_b64 s[0:1], 0
.LBB2_730:                              ;   in Loop: Header=BB2_82 Depth=1
	s_and_b64 vcc, exec, s[0:1]
	s_cbranch_vccz .LBB2_732
; %bb.731:                              ;   in Loop: Header=BB2_82 Depth=1
	s_add_u32 s8, s36, 0x1000
	s_addc_u32 s9, s37, 0
	s_getpc_b64 s[0:1]
	s_add_u32 s0, s0, _Z42ncclDevFunc_Broadcast_RING_LL_Sum_i8_0_0_4v@rel32@lo+4
	s_addc_u32 s1, s1, _Z42ncclDevFunc_Broadcast_RING_LL_Sum_i8_0_0_4v@rel32@hi+12
	s_mov_b64 s[4:5], s[48:49]
	s_mov_b64 s[6:7], s[38:39]
	;; [unrolled: 1-line block ×3, first 2 shown]
	s_mov_b32 s12, s55
	s_mov_b32 s13, s54
	;; [unrolled: 1-line block ×3, first 2 shown]
	v_mov_b32_e32 v31, v40
	s_swappc_b64 s[30:31], s[0:1]
.LBB2_732:                              ;   in Loop: Header=BB2_82 Depth=1
	ds_read_b32 v0, v43 offset:33444
	s_waitcnt lgkmcnt(0)
	v_cmp_eq_u32_e32 vcc, -1, v0
	v_readfirstlane_b32 s8, v0
	s_cbranch_vccnz .LBB2_747
; %bb.733:                              ;   in Loop: Header=BB2_82 Depth=1
	s_barrier
	s_and_saveexec_b64 s[0:1], s[64:65]
	s_cbranch_execz .LBB2_737
; %bb.734:                              ;   in Loop: Header=BB2_82 Depth=1
	s_and_saveexec_b64 s[2:3], s[52:53]
; %bb.735:                              ;   in Loop: Header=BB2_82 Depth=1
	ds_write_b64 v43, v[58:59] offset:37592
; %bb.736:                              ;   in Loop: Header=BB2_82 Depth=1
	s_or_b64 exec, exec, s[2:3]
	ds_write_b64 v41, v[58:59]
.LBB2_737:                              ;   in Loop: Header=BB2_82 Depth=1
	s_or_b64 exec, exec, s[0:1]
	s_and_saveexec_b64 s[0:1], s[50:51]
	s_cbranch_execz .LBB2_749
; %bb.738:                              ;   in Loop: Header=BB2_82 Depth=1
	ds_read_b64 v[2:3], v43 offset:33424
	ds_read_b32 v4, v43 offset:33452
	s_waitcnt lgkmcnt(0)
	v_lshl_add_u64 v[0:1], v[2:3], 0, 1
	v_ashrrev_i32_e32 v5, 31, v4
	v_lshl_add_u64 v[6:7], v[2:3], 0, v[4:5]
	v_cmp_gt_u64_e32 vcc, v[0:1], v[6:7]
	s_cbranch_vccnz .LBB2_748
; %bb.739:                              ;   in Loop: Header=BB2_82 Depth=1
	ds_read_u8 v8, v43 offset:33448
	s_mov_b32 s4, 0x8f0e
	s_mov_b32 s5, 0x8eda
	s_branch .LBB2_741
.LBB2_740:                              ;   in Loop: Header=BB2_741 Depth=2
	s_waitcnt lgkmcnt(0)
	v_ashrrev_i32_e32 v5, 31, v4
	v_lshl_add_u64 v[0:1], v[0:1], 0, 1
	v_lshl_add_u64 v[6:7], v[2:3], 0, v[4:5]
	v_cmp_le_u64_e32 vcc, v[0:1], v[6:7]
	s_add_i32 s4, s4, 64
	s_addk_i32 s5, 0x80
	s_cbranch_vccz .LBB2_748
.LBB2_741:                              ;   Parent Loop BB2_82 Depth=1
                                        ; =>  This Inner Loop Header: Depth=2
	s_waitcnt lgkmcnt(0)
	v_cmp_ne_u32_sdwa s[2:3], v8, v43 src0_sel:BYTE_0 src1_sel:DWORD
	s_and_b64 vcc, exec, s[2:3]
	s_cbranch_vccz .LBB2_746
; %bb.742:                              ;   in Loop: Header=BB2_741 Depth=2
	v_mov_b32_e32 v5, s5
	ds_read_u8 v5, v5
	s_waitcnt lgkmcnt(0)
	v_and_b32_e32 v5, 1, v5
	s_cbranch_execnz .LBB2_744
.LBB2_743:                              ;   in Loop: Header=BB2_741 Depth=2
	v_mov_b32_e32 v5, s4
	ds_read_u16 v5, v5
	s_waitcnt lgkmcnt(0)
	v_bfe_u32 v5, v5, 6, 1
.LBB2_744:                              ;   in Loop: Header=BB2_741 Depth=2
	v_cmp_eq_u32_e32 vcc, 0, v5
	s_cbranch_vccnz .LBB2_740
; %bb.745:                              ;   in Loop: Header=BB2_741 Depth=2
	s_memrealtime s[2:3]
	ds_read_u8 v8, v43 offset:33448
	ds_read_b32 v2, v43 offset:32944
	ds_read_b64 v[4:5], v43 offset:33048
	v_and_b32_e32 v6, 63, v0
	v_lshlrev_b32_e32 v42, 4, v6
	s_waitcnt lgkmcnt(0)
	v_ashrrev_i32_e32 v3, 31, v2
	v_lshlrev_b64 v[2:3], 10, v[2:3]
	v_lshl_add_u64 v[2:3], v[4:5], 0, v[2:3]
	v_lshl_add_u64 v[4:5], v[2:3], 0, v[42:43]
	v_mov_b32_e32 v2, s2
	v_mov_b32_e32 v3, s3
	flat_store_dwordx4 v[4:5], v[0:3]
	ds_read_b64 v[2:3], v43 offset:33424
	ds_read_b32 v4, v43 offset:33452
	s_branch .LBB2_740
.LBB2_746:                              ;   in Loop: Header=BB2_741 Depth=2
                                        ; implicit-def: $vgpr5
	s_branch .LBB2_743
.LBB2_747:                              ;   in Loop: Header=BB2_82 Depth=1
	s_cbranch_execz .LBB2_82
	s_branch .LBB2_68
.LBB2_748:                              ;   in Loop: Header=BB2_82 Depth=1
	ds_write_b64 v43, v[6:7] offset:33424
.LBB2_749:                              ;   in Loop: Header=BB2_82 Depth=1
	s_or_b64 exec, exec, s[0:1]
	s_mov_b32 s12, 0
	v_mov_b32_e32 v1, v56
                                        ; implicit-def: $vgpr8_vgpr9_vgpr10_vgpr11
	s_branch .LBB2_752
.LBB2_750:                              ;   in Loop: Header=BB2_752 Depth=2
	s_or_b64 exec, exec, s[6:7]
	s_mov_b32 s5, s8
	v_mov_b32_e32 v0, v1
.LBB2_751:                              ;   in Loop: Header=BB2_752 Depth=2
	s_andn2_b64 vcc, exec, s[2:3]
	s_mov_b32 s8, s5
	v_mov_b32_e32 v1, v0
	s_cbranch_vccz .LBB2_81
.LBB2_752:                              ;   Parent Loop BB2_82 Depth=1
                                        ; =>  This Inner Loop Header: Depth=2
	s_ashr_i32 s9, s8, 31
	s_lshl_b64 s[0:1], s[8:9], 4
	s_add_u32 s0, s36, s0
	s_addc_u32 s1, s37, s1
	s_load_dwordx4 s[4:7], s[0:1], 0x30
	s_waitcnt lgkmcnt(0)
	v_and_b32_e32 v3, s7, v45
	v_and_b32_e32 v2, s6, v44
	v_cmp_ne_u64_e32 vcc, 0, v[2:3]
	s_and_saveexec_b64 s[0:1], vcc
	s_cbranch_execz .LBB2_754
; %bb.753:                              ;   in Loop: Header=BB2_752 Depth=2
	v_and_b32_e32 v2, s6, v46
	v_and_b32_e32 v0, s7, v47
	v_bcnt_u32_b32 v2, v2, 0
	v_bcnt_u32_b32 v0, v0, v2
	v_add_u32_e32 v0, v57, v0
	ds_write_b8 v0, v56
.LBB2_754:                              ;   in Loop: Header=BB2_752 Depth=2
	s_or_b64 exec, exec, s[0:1]
	s_bcnt1_i32_b64 s13, s[6:7]
	s_bfe_u32 s9, s4, 0x2000f
	s_cmp_lt_i32 s9, 1
	s_mov_b64 s[0:1], -1
                                        ; implicit-def: $vgpr2
                                        ; implicit-def: $vgpr3
                                        ; implicit-def: $vgpr0
                                        ; implicit-def: $vgpr4
	s_cbranch_scc1 .LBB2_762
; %bb.755:                              ;   in Loop: Header=BB2_752 Depth=2
	s_cmp_lg_u32 s9, 1
                                        ; implicit-def: $vgpr2
                                        ; implicit-def: $vgpr3
                                        ; implicit-def: $vgpr0
	s_cbranch_scc0 .LBB2_757
; %bb.756:                              ;   in Loop: Header=BB2_752 Depth=2
	v_mul_hi_i32 v2, v1, s70
	v_lshrrev_b32_e32 v3, 31, v2
	v_ashrrev_i32_e32 v2, 3, v2
	v_add_u32_e32 v2, v2, v3
	v_mul_lo_u32 v3, v2, 20
	v_mul_u32_u24_e64 v0, s13, 20
	v_sub_u32_e32 v3, v1, v3
	s_mov_b64 s[0:1], 0
.LBB2_757:                              ;   in Loop: Header=BB2_752 Depth=2
	s_andn2_b64 vcc, exec, s[0:1]
	s_movk_i32 s2, 0x140
	s_cbranch_vccnz .LBB2_759
; %bb.758:                              ;   in Loop: Header=BB2_752 Depth=2
	v_ashrrev_i32_e32 v0, 31, v1
	v_lshrrev_b32_e32 v0, 29, v0
	v_add_u32_e32 v0, v1, v0
	s_lshl_b32 s0, s13, 3
	v_ashrrev_i32_e32 v2, 3, v0
	v_and_b32_e32 v0, -8, v0
	v_sub_u32_e32 v3, v1, v0
	s_movk_i32 s2, 0x80
	v_mov_b32_e32 v0, s0
.LBB2_759:                              ;   in Loop: Header=BB2_752 Depth=2
	v_mov_b32_e32 v4, s2
	s_cbranch_execz .LBB2_763
.LBB2_760:                              ;   in Loop: Header=BB2_752 Depth=2
	v_cmp_eq_u32_e64 s[0:1], 0, v1
	s_and_saveexec_b64 s[2:3], s[0:1]
	s_cbranch_execz .LBB2_764
.LBB2_761:                              ;   in Loop: Header=BB2_752 Depth=2
	ds_write_b32 v43, v4 offset:33456
	s_or_b64 exec, exec, s[2:3]
	v_cmp_lt_i32_e32 vcc, v1, v0
	s_and_saveexec_b64 s[6:7], vcc
	s_cbranch_execz .LBB2_772
	s_branch .LBB2_765
.LBB2_762:                              ;   in Loop: Header=BB2_752 Depth=2
	s_andn2_b64 vcc, exec, s[0:1]
	s_cbranch_vccnz .LBB2_760
.LBB2_763:                              ;   in Loop: Header=BB2_752 Depth=2
	v_ashrrev_i32_e32 v0, 31, v1
	v_lshrrev_b32_e32 v0, 30, v0
	v_add_u32_e32 v0, v1, v0
	s_lshl_b32 s0, s13, 2
	v_ashrrev_i32_e32 v2, 2, v0
	v_and_b32_e32 v0, -4, v0
	v_sub_u32_e32 v3, v1, v0
	v_mov_b32_e32 v4, 64
	v_mov_b32_e32 v0, s0
	v_cmp_eq_u32_e64 s[0:1], 0, v1
	s_and_saveexec_b64 s[2:3], s[0:1]
	s_cbranch_execnz .LBB2_761
.LBB2_764:                              ;   in Loop: Header=BB2_752 Depth=2
	s_or_b64 exec, exec, s[2:3]
	v_cmp_lt_i32_e32 vcc, v1, v0
	s_and_saveexec_b64 s[6:7], vcc
	s_cbranch_execz .LBB2_772
.LBB2_765:                              ;   in Loop: Header=BB2_752 Depth=2
	ds_read_u8 v0, v43 offset:32920
	v_add_u32_e32 v5, v57, v2
	ds_read_u8 v6, v5
	v_lshlrev_b32_e32 v5, 4, v3
	s_waitcnt lgkmcnt(0)
	v_cmp_ne_u32_e64 s[2:3], 0, v0
	s_and_b64 vcc, exec, s[2:3]
	s_cbranch_vccz .LBB2_768
; %bb.766:                              ;   in Loop: Header=BB2_752 Depth=2
	s_mov_b64 s[10:11], -1
	s_and_b64 vcc, exec, s[2:3]
                                        ; implicit-def: $vgpr12_vgpr13_vgpr14_vgpr15
                                        ; implicit-def: $vgpr0
	s_cbranch_vccz .LBB2_769
.LBB2_767:                              ;   in Loop: Header=BB2_752 Depth=2
	ds_read_b32 v7, v43 offset:32924
	ds_read_b64 v[12:13], v43 offset:32928
	v_mul_u32_u24_e32 v6, v4, v6
	v_lshlrev_b32_e32 v0, 4, v3
	v_add3_u32 v3, v0, s5, v6
	s_waitcnt lgkmcnt(0)
	v_and_b32_e32 v42, v7, v3
	v_lshl_add_u64 v[6:7], v[12:13], 0, v[42:43]
	flat_load_dwordx4 v[12:15], v[6:7]
	s_cbranch_execz .LBB2_770
	s_branch .LBB2_771
.LBB2_768:                              ;   in Loop: Header=BB2_752 Depth=2
	v_mul_u32_u24_e32 v0, v4, v6
	v_lshlrev_b32_e32 v7, 4, v3
	v_add3_u32 v0, v7, s5, v0
	global_load_dwordx4 v[8:11], v0, s[36:37]
	s_mov_b64 s[10:11], -1
	s_and_b64 vcc, exec, s[2:3]
                                        ; implicit-def: $vgpr12_vgpr13_vgpr14_vgpr15
                                        ; implicit-def: $vgpr0
	s_cbranch_vccnz .LBB2_767
.LBB2_769:                              ;   in Loop: Header=BB2_752 Depth=2
	s_andn2_b64 vcc, exec, s[10:11]
	s_cbranch_vccnz .LBB2_771
.LBB2_770:                              ;   in Loop: Header=BB2_752 Depth=2
	s_waitcnt vmcnt(0) lgkmcnt(0)
	v_mov_b64_e32 v[14:15], v[10:11]
	v_mov_b32_e32 v0, v5
	v_mov_b64_e32 v[12:13], v[8:9]
.LBB2_771:                              ;   in Loop: Header=BB2_752 Depth=2
	v_add_u32_e32 v2, s12, v2
	s_waitcnt vmcnt(0) lgkmcnt(0)
	v_mov_b64_e32 v[8:9], v[12:13]
	v_mad_u64_u32 v[2:3], s[2:3], v2, v4, v[0:1]
	v_mov_b64_e32 v[10:11], v[14:15]
	ds_write_b128 v2, v[12:15] offset:36560
.LBB2_772:                              ;   in Loop: Header=BB2_752 Depth=2
	s_or_b64 exec, exec, s[6:7]
	s_bitcmp0_b32 s4, 14
	s_cselect_b64 s[2:3], -1, 0
	s_mov_b64 s[6:7], -1
	s_and_b64 vcc, exec, s[2:3]
	v_readfirstlane_b32 s5, v0
                                        ; implicit-def: $vgpr0
	s_cbranch_vccnz .LBB2_774
; %bb.773:                              ;   in Loop: Header=BB2_752 Depth=2
	v_mov_b32_e32 v0, s68
	v_cmp_gt_i32_e32 vcc, 64, v1
	s_and_b32 s5, s4, 0x3fff
	s_add_i32 s5, s5, s8
	v_cndmask_b32_e32 v0, 0, v0, vcc
	v_add3_u32 v0, v1, v0, s71
	s_add_i32 s12, s12, s13
	s_cbranch_execnz .LBB2_751
	s_branch .LBB2_775
.LBB2_774:                              ;   in Loop: Header=BB2_752 Depth=2
	s_andn2_b64 vcc, exec, s[6:7]
	s_add_i32 s12, s12, s13
	s_cbranch_vccnz .LBB2_751
.LBB2_775:                              ;   in Loop: Header=BB2_752 Depth=2
	s_and_saveexec_b64 s[6:7], s[0:1]
	s_cbranch_execz .LBB2_750
; %bb.776:                              ;   in Loop: Header=BB2_752 Depth=2
	s_and_b32 s0, s4, 0x3fff
	s_add_i32 s1, s0, s8
	s_cmp_lg_u32 s0, 0
	s_cselect_b32 s0, s1, -1
	v_mov_b32_e32 v0, s8
	v_mov_b32_e32 v1, s0
	ds_write_b64 v43, v[0:1] offset:33440
	v_mov_b32_e32 v0, s9
	ds_write_b8 v43, v0 offset:33448
	v_mov_b32_e32 v0, s12
	s_lshr_b32 s0, s4, 17
	ds_write_b32 v43, v0 offset:33452
	v_mov_b32_e32 v0, s0
	v_mov_b32_e32 v1, 0
	ds_write_b16 v43, v0 offset:33450
	s_branch .LBB2_750
	.section	.rodata,"a",@progbits
	.p2align	6, 0x0
	.amdhsa_kernel _Z23ncclDevKernel_Generic_424ncclDevKernelArgsStorageILm4096EE
		.amdhsa_group_segment_fixed_size 37600
		.amdhsa_private_segment_fixed_size 0
		.amdhsa_kernarg_size 4352
		.amdhsa_user_sgpr_count 8
		.amdhsa_user_sgpr_dispatch_ptr 1
		.amdhsa_user_sgpr_queue_ptr 1
		.amdhsa_user_sgpr_kernarg_segment_ptr 1
		.amdhsa_user_sgpr_dispatch_id 1
		.amdhsa_user_sgpr_kernarg_preload_length 0
		.amdhsa_user_sgpr_kernarg_preload_offset 0
		.amdhsa_user_sgpr_private_segment_size 0
		.amdhsa_uses_dynamic_stack 1
		.amdhsa_enable_private_segment 1
		.amdhsa_system_sgpr_workgroup_id_x 1
		.amdhsa_system_sgpr_workgroup_id_y 1
		.amdhsa_system_sgpr_workgroup_id_z 1
		.amdhsa_system_sgpr_workgroup_info 0
		.amdhsa_system_vgpr_workitem_id 2
		.amdhsa_next_free_vgpr max(totalnumvgprs(_Z23ncclDevKernel_Generic_424ncclDevKernelArgsStorageILm4096EE.num_agpr, _Z23ncclDevKernel_Generic_424ncclDevKernelArgsStorageILm4096EE.num_vgpr), 1, 0)
		.amdhsa_next_free_sgpr max(_Z23ncclDevKernel_Generic_424ncclDevKernelArgsStorageILm4096EE.numbered_sgpr+6, 1, 0)-6
		.amdhsa_accum_offset (((((alignto(max(1, _Z23ncclDevKernel_Generic_424ncclDevKernelArgsStorageILm4096EE.num_vgpr), 4)/4)-1)&~65536)&63)+1)*4
		.amdhsa_reserve_vcc 1
		.amdhsa_float_round_mode_32 0
		.amdhsa_float_round_mode_16_64 0
		.amdhsa_float_denorm_mode_32 3
		.amdhsa_float_denorm_mode_16_64 3
		.amdhsa_dx10_clamp 1
		.amdhsa_ieee_mode 1
		.amdhsa_fp16_overflow 0
		.amdhsa_tg_split 0
		.amdhsa_exception_fp_ieee_invalid_op 0
		.amdhsa_exception_fp_denorm_src 0
		.amdhsa_exception_fp_ieee_div_zero 0
		.amdhsa_exception_fp_ieee_overflow 0
		.amdhsa_exception_fp_ieee_underflow 0
		.amdhsa_exception_fp_ieee_inexact 0
		.amdhsa_exception_int_div_zero 0
	.end_amdhsa_kernel
	.text
.Lfunc_end2:
	.size	_Z23ncclDevKernel_Generic_424ncclDevKernelArgsStorageILm4096EE, .Lfunc_end2-_Z23ncclDevKernel_Generic_424ncclDevKernelArgsStorageILm4096EE
                                        ; -- End function
	.set _Z23ncclDevKernel_Generic_424ncclDevKernelArgsStorageILm4096EE.num_vgpr, max(60, amdgpu.max_num_vgpr)
	.set _Z23ncclDevKernel_Generic_424ncclDevKernelArgsStorageILm4096EE.num_agpr, max(0, amdgpu.max_num_agpr)
	.set _Z23ncclDevKernel_Generic_424ncclDevKernelArgsStorageILm4096EE.numbered_sgpr, max(82, amdgpu.max_num_sgpr)
	.set _Z23ncclDevKernel_Generic_424ncclDevKernelArgsStorageILm4096EE.num_named_barrier, max(0, amdgpu.max_num_named_barrier)
	.set _Z23ncclDevKernel_Generic_424ncclDevKernelArgsStorageILm4096EE.private_seg_size, 0
	.set _Z23ncclDevKernel_Generic_424ncclDevKernelArgsStorageILm4096EE.uses_vcc, 1
	.set _Z23ncclDevKernel_Generic_424ncclDevKernelArgsStorageILm4096EE.uses_flat_scratch, 1
	.set _Z23ncclDevKernel_Generic_424ncclDevKernelArgsStorageILm4096EE.has_dyn_sized_stack, 1
	.set _Z23ncclDevKernel_Generic_424ncclDevKernelArgsStorageILm4096EE.has_recursion, 1
	.set _Z23ncclDevKernel_Generic_424ncclDevKernelArgsStorageILm4096EE.has_indirect_call, 1
	.section	.AMDGPU.csdata,"",@progbits
; Kernel info:
; codeLenInByte = 19256
; TotalNumSgprs: _Z23ncclDevKernel_Generic_424ncclDevKernelArgsStorageILm4096EE.numbered_sgpr+6
; NumVgprs: _Z23ncclDevKernel_Generic_424ncclDevKernelArgsStorageILm4096EE.num_vgpr
; NumAgprs: _Z23ncclDevKernel_Generic_424ncclDevKernelArgsStorageILm4096EE.num_agpr
; TotalNumVgprs: totalnumvgprs(_Z23ncclDevKernel_Generic_424ncclDevKernelArgsStorageILm4096EE.num_agpr, _Z23ncclDevKernel_Generic_424ncclDevKernelArgsStorageILm4096EE.num_vgpr)
; ScratchSize: 0
; MemoryBound: 0
; FloatMode: 240
; IeeeMode: 1
; LDSByteSize: 37600 bytes/workgroup (compile time only)
; SGPRBlocks: (alignto(max(max(_Z23ncclDevKernel_Generic_424ncclDevKernelArgsStorageILm4096EE.numbered_sgpr+extrasgprs(_Z23ncclDevKernel_Generic_424ncclDevKernelArgsStorageILm4096EE.uses_vcc, _Z23ncclDevKernel_Generic_424ncclDevKernelArgsStorageILm4096EE.uses_flat_scratch, 1), 1, 0), 1), 8)/8)-1
; VGPRBlocks: (alignto(max(max(totalnumvgprs(_Z23ncclDevKernel_Generic_424ncclDevKernelArgsStorageILm4096EE.num_agpr, _Z23ncclDevKernel_Generic_424ncclDevKernelArgsStorageILm4096EE.num_vgpr), 1, 0), 1), 8)/8)-1
; NumSGPRsForWavesPerEU: max(_Z23ncclDevKernel_Generic_424ncclDevKernelArgsStorageILm4096EE.numbered_sgpr+6, 1, 0)
; NumVGPRsForWavesPerEU: max(totalnumvgprs(_Z23ncclDevKernel_Generic_424ncclDevKernelArgsStorageILm4096EE.num_agpr, _Z23ncclDevKernel_Generic_424ncclDevKernelArgsStorageILm4096EE.num_vgpr), 1, 0)
; AccumOffset: ((alignto(max(1, _Z23ncclDevKernel_Generic_424ncclDevKernelArgsStorageILm4096EE.num_vgpr), 4)/4)-1+1)*4
; Occupancy: occupancy(8, 8, 512, 8, 8, max(_Z23ncclDevKernel_Generic_424ncclDevKernelArgsStorageILm4096EE.numbered_sgpr+extrasgprs(_Z23ncclDevKernel_Generic_424ncclDevKernelArgsStorageILm4096EE.uses_vcc, _Z23ncclDevKernel_Generic_424ncclDevKernelArgsStorageILm4096EE.uses_flat_scratch, 1), 1, 0), max(totalnumvgprs(_Z23ncclDevKernel_Generic_424ncclDevKernelArgsStorageILm4096EE.num_agpr, _Z23ncclDevKernel_Generic_424ncclDevKernelArgsStorageILm4096EE.num_vgpr), 1, 0))
; WaveLimiterHint : 0
; COMPUTE_PGM_RSRC2:SCRATCH_EN: 1
; COMPUTE_PGM_RSRC2:USER_SGPR: 8
; COMPUTE_PGM_RSRC2:TRAP_HANDLER: 0
; COMPUTE_PGM_RSRC2:TGID_X_EN: 1
; COMPUTE_PGM_RSRC2:TGID_Y_EN: 1
; COMPUTE_PGM_RSRC2:TGID_Z_EN: 1
; COMPUTE_PGM_RSRC2:TIDIG_COMP_CNT: 2
; COMPUTE_PGM_RSRC3_GFX90A:ACCUM_OFFSET: (((alignto(max(1, _Z23ncclDevKernel_Generic_424ncclDevKernelArgsStorageILm4096EE.num_vgpr), 4)/4)-1)&~65536)&63
; COMPUTE_PGM_RSRC3_GFX90A:TG_SPLIT: 0
	.text
	.p2alignl 6, 3212836864
	.fill 256, 4, 3212836864
	.section	.AMDGPU.gpr_maximums,"",@progbits
	.set amdgpu.max_num_vgpr, 0
	.set amdgpu.max_num_agpr, 0
	.set amdgpu.max_num_sgpr, 0
	.text
	.type	__hip_cuid_953e76370154a24e,@object ; @__hip_cuid_953e76370154a24e
	.section	.bss,"aw",@nobits
	.globl	__hip_cuid_953e76370154a24e
__hip_cuid_953e76370154a24e:
	.byte	0                               ; 0x0
	.size	__hip_cuid_953e76370154a24e, 1

	.hidden	_Z42ncclDevFunc_Broadcast_RING_LL_Sum_i8_0_0_1v
	.hidden	_Z46ncclDevFunc_Broadcast_RING_SIMPLE_Sum_i8_0_0_1v
	.hidden	_Z43ncclDevFunc_Reduce_RING_SIMPLE_Sum_u8_0_0_1v
	.hidden	_Z44ncclDevFunc_Reduce_RING_SIMPLE_Sum_u32_0_0_1v
	.hidden	_Z44ncclDevFunc_Reduce_RING_SIMPLE_Sum_u64_0_0_1v
	.hidden	_Z44ncclDevFunc_Reduce_RING_SIMPLE_Sum_f16_0_0_1v
	.hidden	_Z44ncclDevFunc_Reduce_RING_SIMPLE_Sum_f32_0_0_1v
	.hidden	_Z44ncclDevFunc_Reduce_RING_SIMPLE_Sum_f64_0_0_1v
	.hidden	_Z45ncclDevFunc_Reduce_RING_SIMPLE_Sum_bf16_0_0_1v
	.hidden	_Z45ncclDevFunc_Reduce_RING_SIMPLE_Sum_bf16_0_1_1v
	.hidden	_Z47ncclDevFunc_Reduce_RING_SIMPLE_Sum_f8e4m3_0_0_1v
	.hidden	_Z47ncclDevFunc_Reduce_RING_SIMPLE_Sum_f8e5m2_0_0_1v
	.hidden	_Z44ncclDevFunc_Reduce_RING_SIMPLE_Prod_u8_0_0_1v
	.hidden	_Z45ncclDevFunc_Reduce_RING_SIMPLE_Prod_u32_0_0_1v
	.hidden	_Z45ncclDevFunc_Reduce_RING_SIMPLE_Prod_u64_0_0_1v
	.hidden	_Z45ncclDevFunc_Reduce_RING_SIMPLE_Prod_f16_0_0_1v
	.hidden	_Z45ncclDevFunc_Reduce_RING_SIMPLE_Prod_f32_0_0_1v
	.hidden	_Z45ncclDevFunc_Reduce_RING_SIMPLE_Prod_f64_0_0_1v
	.hidden	_Z46ncclDevFunc_Reduce_RING_SIMPLE_Prod_bf16_0_0_1v
	.hidden	_Z46ncclDevFunc_Reduce_RING_SIMPLE_Prod_bf16_0_1_1v
	.hidden	_Z48ncclDevFunc_Reduce_RING_SIMPLE_Prod_f8e4m3_0_0_1v
	.hidden	_Z48ncclDevFunc_Reduce_RING_SIMPLE_Prod_f8e5m2_0_0_1v
	.hidden	_Z46ncclDevFunc_Reduce_RING_SIMPLE_MinMax_u8_0_0_1v
	.hidden	_Z47ncclDevFunc_Reduce_RING_SIMPLE_MinMax_u32_0_0_1v
	.hidden	_Z47ncclDevFunc_Reduce_RING_SIMPLE_MinMax_u64_0_0_1v
	.hidden	_Z47ncclDevFunc_Reduce_RING_SIMPLE_MinMax_f16_0_0_1v
	.hidden	_Z47ncclDevFunc_Reduce_RING_SIMPLE_MinMax_f32_0_0_1v
	.hidden	_Z47ncclDevFunc_Reduce_RING_SIMPLE_MinMax_f64_0_0_1v
	.hidden	_Z48ncclDevFunc_Reduce_RING_SIMPLE_MinMax_bf16_0_0_1v
	.hidden	_Z48ncclDevFunc_Reduce_RING_SIMPLE_MinMax_bf16_0_1_1v
	.hidden	_Z50ncclDevFunc_Reduce_RING_SIMPLE_MinMax_f8e4m3_0_0_1v
	.hidden	_Z50ncclDevFunc_Reduce_RING_SIMPLE_MinMax_f8e5m2_0_0_1v
	.hidden	_Z49ncclDevFunc_Reduce_RING_SIMPLE_PreMulSum_u8_0_0_1v
	.hidden	_Z50ncclDevFunc_Reduce_RING_SIMPLE_PreMulSum_u32_0_0_1v
	.hidden	_Z50ncclDevFunc_Reduce_RING_SIMPLE_PreMulSum_u64_0_0_1v
	.hidden	_Z50ncclDevFunc_Reduce_RING_SIMPLE_PreMulSum_f16_0_0_1v
	.hidden	_Z50ncclDevFunc_Reduce_RING_SIMPLE_PreMulSum_f32_0_0_1v
	.hidden	_Z50ncclDevFunc_Reduce_RING_SIMPLE_PreMulSum_f64_0_0_1v
	.hidden	_Z51ncclDevFunc_Reduce_RING_SIMPLE_PreMulSum_bf16_0_0_1v
	.hidden	_Z51ncclDevFunc_Reduce_RING_SIMPLE_PreMulSum_bf16_0_1_1v
	.hidden	_Z53ncclDevFunc_Reduce_RING_SIMPLE_PreMulSum_f8e4m3_0_0_1v
	.hidden	_Z53ncclDevFunc_Reduce_RING_SIMPLE_PreMulSum_f8e5m2_0_0_1v
	.hidden	_Z50ncclDevFunc_Reduce_RING_SIMPLE_SumPostDiv_u8_0_0_1v
	.hidden	_Z51ncclDevFunc_Reduce_RING_SIMPLE_SumPostDiv_u32_0_0_1v
	.hidden	_Z51ncclDevFunc_Reduce_RING_SIMPLE_SumPostDiv_u64_0_0_1v
	.hidden	_Z42ncclDevFunc_AllGather_RING_LL_Sum_i8_0_0_1v
	.hidden	_Z46ncclDevFunc_AllGather_RING_SIMPLE_Sum_i8_0_0_1v
	.hidden	_Z41ncclDevFunc_AllGather_PAT_LL_Sum_i8_0_0_1v
	.hidden	_Z45ncclDevFunc_AllGather_PAT_SIMPLE_Sum_i8_0_0_1v
	.hidden	_Z46ncclDevFunc_ReduceScatter_RING_LL_Sum_u8_0_0_1v
	.hidden	_Z47ncclDevFunc_ReduceScatter_RING_LL_Sum_u32_0_0_1v
	.hidden	_Z47ncclDevFunc_ReduceScatter_RING_LL_Sum_u64_0_0_1v
	.hidden	_Z47ncclDevFunc_ReduceScatter_RING_LL_Sum_f16_0_0_1v
	.hidden	_Z47ncclDevFunc_ReduceScatter_RING_LL_Sum_f32_0_0_1v
	.hidden	_Z47ncclDevFunc_ReduceScatter_RING_LL_Sum_f64_0_0_1v
	.hidden	_Z48ncclDevFunc_ReduceScatter_RING_LL_Sum_bf16_0_0_1v
	.hidden	_Z50ncclDevFunc_ReduceScatter_RING_LL_Sum_f8e4m3_0_0_1v
	.hidden	_Z50ncclDevFunc_ReduceScatter_RING_LL_Sum_f8e5m2_0_0_1v
	.hidden	_Z47ncclDevFunc_ReduceScatter_RING_LL_Prod_u8_0_0_1v
	.hidden	_Z48ncclDevFunc_ReduceScatter_RING_LL_Prod_u32_0_0_1v
	.hidden	_Z48ncclDevFunc_ReduceScatter_RING_LL_Prod_u64_0_0_1v
	.hidden	_Z48ncclDevFunc_ReduceScatter_RING_LL_Prod_f16_0_0_1v
	.hidden	_Z48ncclDevFunc_ReduceScatter_RING_LL_Prod_f32_0_0_1v
	.hidden	_Z48ncclDevFunc_ReduceScatter_RING_LL_Prod_f64_0_0_1v
	.hidden	_Z49ncclDevFunc_ReduceScatter_RING_LL_Prod_bf16_0_0_1v
	.hidden	_Z51ncclDevFunc_ReduceScatter_RING_LL_Prod_f8e4m3_0_0_1v
	.hidden	_Z51ncclDevFunc_ReduceScatter_RING_LL_Prod_f8e5m2_0_0_1v
	.hidden	_Z49ncclDevFunc_ReduceScatter_RING_LL_MinMax_u8_0_0_1v
	.hidden	_Z50ncclDevFunc_ReduceScatter_RING_LL_MinMax_u32_0_0_1v
	.hidden	_Z50ncclDevFunc_ReduceScatter_RING_LL_MinMax_u64_0_0_1v
	.hidden	_Z50ncclDevFunc_ReduceScatter_RING_LL_MinMax_f16_0_0_1v
	.hidden	_Z50ncclDevFunc_ReduceScatter_RING_LL_MinMax_f32_0_0_1v
	.hidden	_Z50ncclDevFunc_ReduceScatter_RING_LL_MinMax_f64_0_0_1v
	.hidden	_Z51ncclDevFunc_ReduceScatter_RING_LL_MinMax_bf16_0_0_1v
	.hidden	_Z53ncclDevFunc_ReduceScatter_RING_LL_MinMax_f8e4m3_0_0_1v
	.hidden	_Z53ncclDevFunc_ReduceScatter_RING_LL_MinMax_f8e5m2_0_0_1v
	.hidden	_Z52ncclDevFunc_ReduceScatter_RING_LL_PreMulSum_u8_0_0_1v
	.hidden	_Z53ncclDevFunc_ReduceScatter_RING_LL_PreMulSum_u32_0_0_1v
	.hidden	_Z53ncclDevFunc_ReduceScatter_RING_LL_PreMulSum_u64_0_0_1v
	.hidden	_Z53ncclDevFunc_ReduceScatter_RING_LL_PreMulSum_f16_0_0_1v
	.hidden	_Z53ncclDevFunc_ReduceScatter_RING_LL_PreMulSum_f32_0_0_1v
	.hidden	_Z53ncclDevFunc_ReduceScatter_RING_LL_PreMulSum_f64_0_0_1v
	.hidden	_Z54ncclDevFunc_ReduceScatter_RING_LL_PreMulSum_bf16_0_0_1v
	.hidden	_Z56ncclDevFunc_ReduceScatter_RING_LL_PreMulSum_f8e4m3_0_0_1v
	.hidden	_Z56ncclDevFunc_ReduceScatter_RING_LL_PreMulSum_f8e5m2_0_0_1v
	.hidden	_Z53ncclDevFunc_ReduceScatter_RING_LL_SumPostDiv_u8_0_0_1v
	.hidden	_Z54ncclDevFunc_ReduceScatter_RING_LL_SumPostDiv_u32_0_0_1v
	.hidden	_Z54ncclDevFunc_ReduceScatter_RING_LL_SumPostDiv_u64_0_0_1v
	.hidden	_Z46ncclDevFunc_AllReduce_RING_SIMPLE_Sum_u8_0_0_1v
	.hidden	_Z46ncclDevFunc_AllReduce_RING_SIMPLE_Sum_u8_1_0_1v
	.hidden	_Z47ncclDevFunc_AllReduce_RING_SIMPLE_Sum_u32_0_0_1v
	.hidden	_Z47ncclDevFunc_AllReduce_RING_SIMPLE_Sum_u32_1_0_1v
	.hidden	_Z47ncclDevFunc_AllReduce_RING_SIMPLE_Sum_u64_0_0_1v
	.hidden	_Z47ncclDevFunc_AllReduce_RING_SIMPLE_Sum_u64_1_0_1v
	.hidden	_Z47ncclDevFunc_AllReduce_RING_SIMPLE_Sum_f16_0_0_1v
	.hidden	_Z47ncclDevFunc_AllReduce_RING_SIMPLE_Sum_f16_1_0_1v
	.hidden	_Z47ncclDevFunc_AllReduce_RING_SIMPLE_Sum_f32_0_0_1v
	.hidden	_Z47ncclDevFunc_AllReduce_RING_SIMPLE_Sum_f32_1_0_1v
	.hidden	_Z47ncclDevFunc_AllReduce_RING_SIMPLE_Sum_f64_0_0_1v
	.hidden	_Z47ncclDevFunc_AllReduce_RING_SIMPLE_Sum_f64_1_0_1v
	.hidden	_Z48ncclDevFunc_AllReduce_RING_SIMPLE_Sum_bf16_0_0_1v
	.hidden	_Z48ncclDevFunc_AllReduce_RING_SIMPLE_Sum_bf16_0_1_1v
	.hidden	_Z48ncclDevFunc_AllReduce_RING_SIMPLE_Sum_bf16_1_0_1v
	.hidden	_Z48ncclDevFunc_AllReduce_RING_SIMPLE_Sum_bf16_1_1_1v
	.hidden	_Z50ncclDevFunc_AllReduce_RING_SIMPLE_Sum_f8e4m3_0_0_1v
	.hidden	_Z50ncclDevFunc_AllReduce_RING_SIMPLE_Sum_f8e4m3_1_0_1v
	.hidden	_Z50ncclDevFunc_AllReduce_RING_SIMPLE_Sum_f8e5m2_0_0_1v
	.hidden	_Z50ncclDevFunc_AllReduce_RING_SIMPLE_Sum_f8e5m2_1_0_1v
	.hidden	_Z47ncclDevFunc_AllReduce_RING_SIMPLE_Prod_u8_0_0_1v
	.hidden	_Z47ncclDevFunc_AllReduce_RING_SIMPLE_Prod_u8_1_0_1v
	.hidden	_Z48ncclDevFunc_AllReduce_RING_SIMPLE_Prod_u32_0_0_1v
	.hidden	_Z48ncclDevFunc_AllReduce_RING_SIMPLE_Prod_u32_1_0_1v
	.hidden	_Z48ncclDevFunc_AllReduce_RING_SIMPLE_Prod_u64_0_0_1v
	.hidden	_Z48ncclDevFunc_AllReduce_RING_SIMPLE_Prod_u64_1_0_1v
	.hidden	_Z48ncclDevFunc_AllReduce_RING_SIMPLE_Prod_f16_0_0_1v
	.hidden	_Z48ncclDevFunc_AllReduce_RING_SIMPLE_Prod_f16_1_0_1v
	.hidden	_Z48ncclDevFunc_AllReduce_RING_SIMPLE_Prod_f32_0_0_1v
	.hidden	_Z48ncclDevFunc_AllReduce_RING_SIMPLE_Prod_f32_1_0_1v
	.hidden	_Z48ncclDevFunc_AllReduce_RING_SIMPLE_Prod_f64_0_0_1v
	.hidden	_Z48ncclDevFunc_AllReduce_RING_SIMPLE_Prod_f64_1_0_1v
	.hidden	_Z49ncclDevFunc_AllReduce_RING_SIMPLE_Prod_bf16_0_0_1v
	.hidden	_Z49ncclDevFunc_AllReduce_RING_SIMPLE_Prod_bf16_0_1_1v
	.hidden	_Z49ncclDevFunc_AllReduce_RING_SIMPLE_Prod_bf16_1_0_1v
	.hidden	_Z49ncclDevFunc_AllReduce_RING_SIMPLE_Prod_bf16_1_1_1v
	.hidden	_Z51ncclDevFunc_AllReduce_RING_SIMPLE_Prod_f8e4m3_0_0_1v
	.hidden	_Z51ncclDevFunc_AllReduce_RING_SIMPLE_Prod_f8e4m3_1_0_1v
	.hidden	_Z51ncclDevFunc_AllReduce_RING_SIMPLE_Prod_f8e5m2_0_0_1v
	.hidden	_Z51ncclDevFunc_AllReduce_RING_SIMPLE_Prod_f8e5m2_1_0_1v
	.hidden	_Z49ncclDevFunc_AllReduce_RING_SIMPLE_MinMax_u8_0_0_1v
	.hidden	_Z49ncclDevFunc_AllReduce_RING_SIMPLE_MinMax_u8_1_0_1v
	.hidden	_Z50ncclDevFunc_AllReduce_RING_SIMPLE_MinMax_u32_0_0_1v
	.hidden	_Z50ncclDevFunc_AllReduce_RING_SIMPLE_MinMax_u32_1_0_1v
	.hidden	_Z50ncclDevFunc_AllReduce_RING_SIMPLE_MinMax_u64_0_0_1v
	.hidden	_Z50ncclDevFunc_AllReduce_RING_SIMPLE_MinMax_u64_1_0_1v
	.hidden	_Z50ncclDevFunc_AllReduce_RING_SIMPLE_MinMax_f16_0_0_1v
	.hidden	_Z50ncclDevFunc_AllReduce_RING_SIMPLE_MinMax_f16_1_0_1v
	.hidden	_Z50ncclDevFunc_AllReduce_RING_SIMPLE_MinMax_f32_0_0_1v
	.hidden	_Z50ncclDevFunc_AllReduce_RING_SIMPLE_MinMax_f32_1_0_1v
	.hidden	_Z50ncclDevFunc_AllReduce_RING_SIMPLE_MinMax_f64_0_0_1v
	.hidden	_Z50ncclDevFunc_AllReduce_RING_SIMPLE_MinMax_f64_1_0_1v
	.hidden	_Z51ncclDevFunc_AllReduce_RING_SIMPLE_MinMax_bf16_0_0_1v
	.hidden	_Z51ncclDevFunc_AllReduce_RING_SIMPLE_MinMax_bf16_0_1_1v
	.hidden	_Z51ncclDevFunc_AllReduce_RING_SIMPLE_MinMax_bf16_1_0_1v
	.hidden	_Z51ncclDevFunc_AllReduce_RING_SIMPLE_MinMax_bf16_1_1_1v
	.hidden	_Z53ncclDevFunc_AllReduce_RING_SIMPLE_MinMax_f8e4m3_0_0_1v
	.hidden	_Z53ncclDevFunc_AllReduce_RING_SIMPLE_MinMax_f8e4m3_1_0_1v
	.hidden	_Z53ncclDevFunc_AllReduce_RING_SIMPLE_MinMax_f8e5m2_0_0_1v
	.hidden	_Z53ncclDevFunc_AllReduce_RING_SIMPLE_MinMax_f8e5m2_1_0_1v
	.hidden	_Z52ncclDevFunc_AllReduce_RING_SIMPLE_PreMulSum_u8_0_0_1v
	.hidden	_Z52ncclDevFunc_AllReduce_RING_SIMPLE_PreMulSum_u8_1_0_1v
	.hidden	_Z53ncclDevFunc_AllReduce_RING_SIMPLE_PreMulSum_u32_0_0_1v
	.hidden	_Z53ncclDevFunc_AllReduce_RING_SIMPLE_PreMulSum_u32_1_0_1v
	.hidden	_Z53ncclDevFunc_AllReduce_RING_SIMPLE_PreMulSum_u64_0_0_1v
	.hidden	_Z53ncclDevFunc_AllReduce_RING_SIMPLE_PreMulSum_u64_1_0_1v
	.hidden	_Z53ncclDevFunc_AllReduce_RING_SIMPLE_PreMulSum_f16_0_0_1v
	.hidden	_Z53ncclDevFunc_AllReduce_RING_SIMPLE_PreMulSum_f16_1_0_1v
	.hidden	_Z53ncclDevFunc_AllReduce_RING_SIMPLE_PreMulSum_f32_0_0_1v
	.hidden	_Z53ncclDevFunc_AllReduce_RING_SIMPLE_PreMulSum_f32_1_0_1v
	.hidden	_Z53ncclDevFunc_AllReduce_RING_SIMPLE_PreMulSum_f64_0_0_1v
	.hidden	_Z53ncclDevFunc_AllReduce_RING_SIMPLE_PreMulSum_f64_1_0_1v
	.hidden	_Z54ncclDevFunc_AllReduce_RING_SIMPLE_PreMulSum_bf16_0_0_1v
	.hidden	_Z54ncclDevFunc_AllReduce_RING_SIMPLE_PreMulSum_bf16_0_1_1v
	.hidden	_Z54ncclDevFunc_AllReduce_RING_SIMPLE_PreMulSum_bf16_1_0_1v
	.hidden	_Z54ncclDevFunc_AllReduce_RING_SIMPLE_PreMulSum_bf16_1_1_1v
	.hidden	_Z56ncclDevFunc_AllReduce_RING_SIMPLE_PreMulSum_f8e4m3_0_0_1v
	.hidden	_Z56ncclDevFunc_AllReduce_RING_SIMPLE_PreMulSum_f8e4m3_1_0_1v
	.hidden	_Z56ncclDevFunc_AllReduce_RING_SIMPLE_PreMulSum_f8e5m2_0_0_1v
	.hidden	_Z56ncclDevFunc_AllReduce_RING_SIMPLE_PreMulSum_f8e5m2_1_0_1v
	.hidden	_Z53ncclDevFunc_AllReduce_RING_SIMPLE_SumPostDiv_u8_0_0_1v
	.hidden	_Z53ncclDevFunc_AllReduce_RING_SIMPLE_SumPostDiv_u8_1_0_1v
	.hidden	_Z54ncclDevFunc_AllReduce_RING_SIMPLE_SumPostDiv_u32_0_0_1v
	.hidden	_Z54ncclDevFunc_AllReduce_RING_SIMPLE_SumPostDiv_u32_1_0_1v
	.hidden	_Z54ncclDevFunc_AllReduce_RING_SIMPLE_SumPostDiv_u64_0_0_1v
	.hidden	_Z54ncclDevFunc_AllReduce_RING_SIMPLE_SumPostDiv_u64_1_0_1v
	.hidden	_Z45ncclDevFunc_SendRecv_RING_SIMPLE_Sum_i8_0_0_1v
	.hidden	_Z50ncclDevFunc_AlltoAllPivot_RING_SIMPLE_Sum_i8_0_0_1v
	.hidden	_Z42ncclDevFunc_Broadcast_RING_LL_Sum_i8_0_0_2v
	.hidden	_Z46ncclDevFunc_Broadcast_RING_SIMPLE_Sum_i8_0_0_2v
	.hidden	_Z43ncclDevFunc_Reduce_RING_SIMPLE_Sum_u8_0_0_2v
	.hidden	_Z44ncclDevFunc_Reduce_RING_SIMPLE_Sum_u32_0_0_2v
	.hidden	_Z44ncclDevFunc_Reduce_RING_SIMPLE_Sum_u64_0_0_2v
	.hidden	_Z44ncclDevFunc_Reduce_RING_SIMPLE_Sum_f16_0_0_2v
	.hidden	_Z44ncclDevFunc_Reduce_RING_SIMPLE_Sum_f32_0_0_2v
	.hidden	_Z44ncclDevFunc_Reduce_RING_SIMPLE_Sum_f64_0_0_2v
	.hidden	_Z45ncclDevFunc_Reduce_RING_SIMPLE_Sum_bf16_0_0_2v
	.hidden	_Z45ncclDevFunc_Reduce_RING_SIMPLE_Sum_bf16_0_1_2v
	.hidden	_Z47ncclDevFunc_Reduce_RING_SIMPLE_Sum_f8e4m3_0_0_2v
	.hidden	_Z47ncclDevFunc_Reduce_RING_SIMPLE_Sum_f8e5m2_0_0_2v
	.hidden	_Z44ncclDevFunc_Reduce_RING_SIMPLE_Prod_u8_0_0_2v
	.hidden	_Z45ncclDevFunc_Reduce_RING_SIMPLE_Prod_u32_0_0_2v
	.hidden	_Z45ncclDevFunc_Reduce_RING_SIMPLE_Prod_u64_0_0_2v
	.hidden	_Z45ncclDevFunc_Reduce_RING_SIMPLE_Prod_f16_0_0_2v
	.hidden	_Z45ncclDevFunc_Reduce_RING_SIMPLE_Prod_f32_0_0_2v
	.hidden	_Z45ncclDevFunc_Reduce_RING_SIMPLE_Prod_f64_0_0_2v
	.hidden	_Z46ncclDevFunc_Reduce_RING_SIMPLE_Prod_bf16_0_0_2v
	.hidden	_Z46ncclDevFunc_Reduce_RING_SIMPLE_Prod_bf16_0_1_2v
	.hidden	_Z48ncclDevFunc_Reduce_RING_SIMPLE_Prod_f8e4m3_0_0_2v
	.hidden	_Z48ncclDevFunc_Reduce_RING_SIMPLE_Prod_f8e5m2_0_0_2v
	.hidden	_Z46ncclDevFunc_Reduce_RING_SIMPLE_MinMax_u8_0_0_2v
	.hidden	_Z47ncclDevFunc_Reduce_RING_SIMPLE_MinMax_u32_0_0_2v
	.hidden	_Z47ncclDevFunc_Reduce_RING_SIMPLE_MinMax_u64_0_0_2v
	.hidden	_Z47ncclDevFunc_Reduce_RING_SIMPLE_MinMax_f16_0_0_2v
	.hidden	_Z47ncclDevFunc_Reduce_RING_SIMPLE_MinMax_f32_0_0_2v
	.hidden	_Z47ncclDevFunc_Reduce_RING_SIMPLE_MinMax_f64_0_0_2v
	.hidden	_Z48ncclDevFunc_Reduce_RING_SIMPLE_MinMax_bf16_0_0_2v
	.hidden	_Z48ncclDevFunc_Reduce_RING_SIMPLE_MinMax_bf16_0_1_2v
	.hidden	_Z50ncclDevFunc_Reduce_RING_SIMPLE_MinMax_f8e4m3_0_0_2v
	.hidden	_Z50ncclDevFunc_Reduce_RING_SIMPLE_MinMax_f8e5m2_0_0_2v
	.hidden	_Z49ncclDevFunc_Reduce_RING_SIMPLE_PreMulSum_u8_0_0_2v
	.hidden	_Z50ncclDevFunc_Reduce_RING_SIMPLE_PreMulSum_u32_0_0_2v
	.hidden	_Z50ncclDevFunc_Reduce_RING_SIMPLE_PreMulSum_u64_0_0_2v
	.hidden	_Z50ncclDevFunc_Reduce_RING_SIMPLE_PreMulSum_f16_0_0_2v
	.hidden	_Z50ncclDevFunc_Reduce_RING_SIMPLE_PreMulSum_f32_0_0_2v
	.hidden	_Z50ncclDevFunc_Reduce_RING_SIMPLE_PreMulSum_f64_0_0_2v
	.hidden	_Z51ncclDevFunc_Reduce_RING_SIMPLE_PreMulSum_bf16_0_0_2v
	.hidden	_Z51ncclDevFunc_Reduce_RING_SIMPLE_PreMulSum_bf16_0_1_2v
	.hidden	_Z53ncclDevFunc_Reduce_RING_SIMPLE_PreMulSum_f8e4m3_0_0_2v
	.hidden	_Z53ncclDevFunc_Reduce_RING_SIMPLE_PreMulSum_f8e5m2_0_0_2v
	.hidden	_Z50ncclDevFunc_Reduce_RING_SIMPLE_SumPostDiv_u8_0_0_2v
	.hidden	_Z51ncclDevFunc_Reduce_RING_SIMPLE_SumPostDiv_u32_0_0_2v
	.hidden	_Z51ncclDevFunc_Reduce_RING_SIMPLE_SumPostDiv_u64_0_0_2v
	.hidden	_Z42ncclDevFunc_AllGather_RING_LL_Sum_i8_0_0_2v
	.hidden	_Z46ncclDevFunc_AllGather_RING_SIMPLE_Sum_i8_0_0_2v
	.hidden	_Z41ncclDevFunc_AllGather_PAT_LL_Sum_i8_0_0_2v
	.hidden	_Z45ncclDevFunc_AllGather_PAT_SIMPLE_Sum_i8_0_0_2v
	.hidden	_Z46ncclDevFunc_ReduceScatter_RING_LL_Sum_u8_0_0_2v
	.hidden	_Z47ncclDevFunc_ReduceScatter_RING_LL_Sum_u32_0_0_2v
	.hidden	_Z47ncclDevFunc_ReduceScatter_RING_LL_Sum_u64_0_0_2v
	.hidden	_Z47ncclDevFunc_ReduceScatter_RING_LL_Sum_f16_0_0_2v
	.hidden	_Z47ncclDevFunc_ReduceScatter_RING_LL_Sum_f32_0_0_2v
	.hidden	_Z47ncclDevFunc_ReduceScatter_RING_LL_Sum_f64_0_0_2v
	.hidden	_Z48ncclDevFunc_ReduceScatter_RING_LL_Sum_bf16_0_0_2v
	.hidden	_Z50ncclDevFunc_ReduceScatter_RING_LL_Sum_f8e4m3_0_0_2v
	.hidden	_Z50ncclDevFunc_ReduceScatter_RING_LL_Sum_f8e5m2_0_0_2v
	.hidden	_Z47ncclDevFunc_ReduceScatter_RING_LL_Prod_u8_0_0_2v
	.hidden	_Z48ncclDevFunc_ReduceScatter_RING_LL_Prod_u32_0_0_2v
	.hidden	_Z48ncclDevFunc_ReduceScatter_RING_LL_Prod_u64_0_0_2v
	.hidden	_Z48ncclDevFunc_ReduceScatter_RING_LL_Prod_f16_0_0_2v
	.hidden	_Z48ncclDevFunc_ReduceScatter_RING_LL_Prod_f32_0_0_2v
	.hidden	_Z48ncclDevFunc_ReduceScatter_RING_LL_Prod_f64_0_0_2v
	.hidden	_Z49ncclDevFunc_ReduceScatter_RING_LL_Prod_bf16_0_0_2v
	.hidden	_Z51ncclDevFunc_ReduceScatter_RING_LL_Prod_f8e4m3_0_0_2v
	.hidden	_Z51ncclDevFunc_ReduceScatter_RING_LL_Prod_f8e5m2_0_0_2v
	.hidden	_Z49ncclDevFunc_ReduceScatter_RING_LL_MinMax_u8_0_0_2v
	.hidden	_Z50ncclDevFunc_ReduceScatter_RING_LL_MinMax_u32_0_0_2v
	.hidden	_Z50ncclDevFunc_ReduceScatter_RING_LL_MinMax_u64_0_0_2v
	.hidden	_Z50ncclDevFunc_ReduceScatter_RING_LL_MinMax_f16_0_0_2v
	.hidden	_Z50ncclDevFunc_ReduceScatter_RING_LL_MinMax_f32_0_0_2v
	.hidden	_Z50ncclDevFunc_ReduceScatter_RING_LL_MinMax_f64_0_0_2v
	.hidden	_Z51ncclDevFunc_ReduceScatter_RING_LL_MinMax_bf16_0_0_2v
	.hidden	_Z53ncclDevFunc_ReduceScatter_RING_LL_MinMax_f8e4m3_0_0_2v
	.hidden	_Z53ncclDevFunc_ReduceScatter_RING_LL_MinMax_f8e5m2_0_0_2v
	.hidden	_Z52ncclDevFunc_ReduceScatter_RING_LL_PreMulSum_u8_0_0_2v
	.hidden	_Z53ncclDevFunc_ReduceScatter_RING_LL_PreMulSum_u32_0_0_2v
	.hidden	_Z53ncclDevFunc_ReduceScatter_RING_LL_PreMulSum_u64_0_0_2v
	.hidden	_Z53ncclDevFunc_ReduceScatter_RING_LL_PreMulSum_f16_0_0_2v
	.hidden	_Z53ncclDevFunc_ReduceScatter_RING_LL_PreMulSum_f32_0_0_2v
	.hidden	_Z53ncclDevFunc_ReduceScatter_RING_LL_PreMulSum_f64_0_0_2v
	.hidden	_Z54ncclDevFunc_ReduceScatter_RING_LL_PreMulSum_bf16_0_0_2v
	.hidden	_Z56ncclDevFunc_ReduceScatter_RING_LL_PreMulSum_f8e4m3_0_0_2v
	.hidden	_Z56ncclDevFunc_ReduceScatter_RING_LL_PreMulSum_f8e5m2_0_0_2v
	.hidden	_Z53ncclDevFunc_ReduceScatter_RING_LL_SumPostDiv_u8_0_0_2v
	.hidden	_Z54ncclDevFunc_ReduceScatter_RING_LL_SumPostDiv_u32_0_0_2v
	.hidden	_Z54ncclDevFunc_ReduceScatter_RING_LL_SumPostDiv_u64_0_0_2v
	.hidden	_Z46ncclDevFunc_AllReduce_RING_SIMPLE_Sum_u8_0_0_2v
	.hidden	_Z46ncclDevFunc_AllReduce_RING_SIMPLE_Sum_u8_1_0_2v
	.hidden	_Z47ncclDevFunc_AllReduce_RING_SIMPLE_Sum_u32_0_0_2v
	.hidden	_Z47ncclDevFunc_AllReduce_RING_SIMPLE_Sum_u32_1_0_2v
	.hidden	_Z47ncclDevFunc_AllReduce_RING_SIMPLE_Sum_u64_0_0_2v
	.hidden	_Z47ncclDevFunc_AllReduce_RING_SIMPLE_Sum_u64_1_0_2v
	.hidden	_Z47ncclDevFunc_AllReduce_RING_SIMPLE_Sum_f16_0_0_2v
	.hidden	_Z47ncclDevFunc_AllReduce_RING_SIMPLE_Sum_f16_1_0_2v
	.hidden	_Z47ncclDevFunc_AllReduce_RING_SIMPLE_Sum_f32_0_0_2v
	.hidden	_Z47ncclDevFunc_AllReduce_RING_SIMPLE_Sum_f32_1_0_2v
	.hidden	_Z47ncclDevFunc_AllReduce_RING_SIMPLE_Sum_f64_0_0_2v
	.hidden	_Z47ncclDevFunc_AllReduce_RING_SIMPLE_Sum_f64_1_0_2v
	.hidden	_Z48ncclDevFunc_AllReduce_RING_SIMPLE_Sum_bf16_0_0_2v
	.hidden	_Z48ncclDevFunc_AllReduce_RING_SIMPLE_Sum_bf16_0_1_2v
	.hidden	_Z48ncclDevFunc_AllReduce_RING_SIMPLE_Sum_bf16_1_0_2v
	.hidden	_Z48ncclDevFunc_AllReduce_RING_SIMPLE_Sum_bf16_1_1_2v
	.hidden	_Z50ncclDevFunc_AllReduce_RING_SIMPLE_Sum_f8e4m3_0_0_2v
	.hidden	_Z50ncclDevFunc_AllReduce_RING_SIMPLE_Sum_f8e4m3_1_0_2v
	.hidden	_Z50ncclDevFunc_AllReduce_RING_SIMPLE_Sum_f8e5m2_0_0_2v
	.hidden	_Z50ncclDevFunc_AllReduce_RING_SIMPLE_Sum_f8e5m2_1_0_2v
	.hidden	_Z47ncclDevFunc_AllReduce_RING_SIMPLE_Prod_u8_0_0_2v
	.hidden	_Z47ncclDevFunc_AllReduce_RING_SIMPLE_Prod_u8_1_0_2v
	.hidden	_Z48ncclDevFunc_AllReduce_RING_SIMPLE_Prod_u32_0_0_2v
	.hidden	_Z48ncclDevFunc_AllReduce_RING_SIMPLE_Prod_u32_1_0_2v
	.hidden	_Z48ncclDevFunc_AllReduce_RING_SIMPLE_Prod_u64_0_0_2v
	.hidden	_Z48ncclDevFunc_AllReduce_RING_SIMPLE_Prod_u64_1_0_2v
	.hidden	_Z48ncclDevFunc_AllReduce_RING_SIMPLE_Prod_f16_0_0_2v
	.hidden	_Z48ncclDevFunc_AllReduce_RING_SIMPLE_Prod_f16_1_0_2v
	.hidden	_Z48ncclDevFunc_AllReduce_RING_SIMPLE_Prod_f32_0_0_2v
	.hidden	_Z48ncclDevFunc_AllReduce_RING_SIMPLE_Prod_f32_1_0_2v
	.hidden	_Z48ncclDevFunc_AllReduce_RING_SIMPLE_Prod_f64_0_0_2v
	.hidden	_Z48ncclDevFunc_AllReduce_RING_SIMPLE_Prod_f64_1_0_2v
	.hidden	_Z49ncclDevFunc_AllReduce_RING_SIMPLE_Prod_bf16_0_0_2v
	.hidden	_Z49ncclDevFunc_AllReduce_RING_SIMPLE_Prod_bf16_0_1_2v
	.hidden	_Z49ncclDevFunc_AllReduce_RING_SIMPLE_Prod_bf16_1_0_2v
	.hidden	_Z49ncclDevFunc_AllReduce_RING_SIMPLE_Prod_bf16_1_1_2v
	.hidden	_Z51ncclDevFunc_AllReduce_RING_SIMPLE_Prod_f8e4m3_0_0_2v
	.hidden	_Z51ncclDevFunc_AllReduce_RING_SIMPLE_Prod_f8e4m3_1_0_2v
	.hidden	_Z51ncclDevFunc_AllReduce_RING_SIMPLE_Prod_f8e5m2_0_0_2v
	.hidden	_Z51ncclDevFunc_AllReduce_RING_SIMPLE_Prod_f8e5m2_1_0_2v
	.hidden	_Z49ncclDevFunc_AllReduce_RING_SIMPLE_MinMax_u8_0_0_2v
	.hidden	_Z49ncclDevFunc_AllReduce_RING_SIMPLE_MinMax_u8_1_0_2v
	.hidden	_Z50ncclDevFunc_AllReduce_RING_SIMPLE_MinMax_u32_0_0_2v
	.hidden	_Z50ncclDevFunc_AllReduce_RING_SIMPLE_MinMax_u32_1_0_2v
	.hidden	_Z50ncclDevFunc_AllReduce_RING_SIMPLE_MinMax_u64_0_0_2v
	.hidden	_Z50ncclDevFunc_AllReduce_RING_SIMPLE_MinMax_u64_1_0_2v
	.hidden	_Z50ncclDevFunc_AllReduce_RING_SIMPLE_MinMax_f16_0_0_2v
	.hidden	_Z50ncclDevFunc_AllReduce_RING_SIMPLE_MinMax_f16_1_0_2v
	.hidden	_Z50ncclDevFunc_AllReduce_RING_SIMPLE_MinMax_f32_0_0_2v
	.hidden	_Z50ncclDevFunc_AllReduce_RING_SIMPLE_MinMax_f32_1_0_2v
	.hidden	_Z50ncclDevFunc_AllReduce_RING_SIMPLE_MinMax_f64_0_0_2v
	.hidden	_Z50ncclDevFunc_AllReduce_RING_SIMPLE_MinMax_f64_1_0_2v
	.hidden	_Z51ncclDevFunc_AllReduce_RING_SIMPLE_MinMax_bf16_0_0_2v
	.hidden	_Z51ncclDevFunc_AllReduce_RING_SIMPLE_MinMax_bf16_0_1_2v
	.hidden	_Z51ncclDevFunc_AllReduce_RING_SIMPLE_MinMax_bf16_1_0_2v
	.hidden	_Z51ncclDevFunc_AllReduce_RING_SIMPLE_MinMax_bf16_1_1_2v
	.hidden	_Z53ncclDevFunc_AllReduce_RING_SIMPLE_MinMax_f8e4m3_0_0_2v
	.hidden	_Z53ncclDevFunc_AllReduce_RING_SIMPLE_MinMax_f8e4m3_1_0_2v
	.hidden	_Z53ncclDevFunc_AllReduce_RING_SIMPLE_MinMax_f8e5m2_0_0_2v
	.hidden	_Z53ncclDevFunc_AllReduce_RING_SIMPLE_MinMax_f8e5m2_1_0_2v
	.hidden	_Z52ncclDevFunc_AllReduce_RING_SIMPLE_PreMulSum_u8_0_0_2v
	.hidden	_Z52ncclDevFunc_AllReduce_RING_SIMPLE_PreMulSum_u8_1_0_2v
	.hidden	_Z53ncclDevFunc_AllReduce_RING_SIMPLE_PreMulSum_u32_0_0_2v
	.hidden	_Z53ncclDevFunc_AllReduce_RING_SIMPLE_PreMulSum_u32_1_0_2v
	.hidden	_Z53ncclDevFunc_AllReduce_RING_SIMPLE_PreMulSum_u64_0_0_2v
	.hidden	_Z53ncclDevFunc_AllReduce_RING_SIMPLE_PreMulSum_u64_1_0_2v
	.hidden	_Z53ncclDevFunc_AllReduce_RING_SIMPLE_PreMulSum_f16_0_0_2v
	.hidden	_Z53ncclDevFunc_AllReduce_RING_SIMPLE_PreMulSum_f16_1_0_2v
	.hidden	_Z53ncclDevFunc_AllReduce_RING_SIMPLE_PreMulSum_f32_0_0_2v
	.hidden	_Z53ncclDevFunc_AllReduce_RING_SIMPLE_PreMulSum_f32_1_0_2v
	.hidden	_Z53ncclDevFunc_AllReduce_RING_SIMPLE_PreMulSum_f64_0_0_2v
	.hidden	_Z53ncclDevFunc_AllReduce_RING_SIMPLE_PreMulSum_f64_1_0_2v
	.hidden	_Z54ncclDevFunc_AllReduce_RING_SIMPLE_PreMulSum_bf16_0_0_2v
	.hidden	_Z54ncclDevFunc_AllReduce_RING_SIMPLE_PreMulSum_bf16_0_1_2v
	.hidden	_Z54ncclDevFunc_AllReduce_RING_SIMPLE_PreMulSum_bf16_1_0_2v
	.hidden	_Z54ncclDevFunc_AllReduce_RING_SIMPLE_PreMulSum_bf16_1_1_2v
	.hidden	_Z56ncclDevFunc_AllReduce_RING_SIMPLE_PreMulSum_f8e4m3_0_0_2v
	.hidden	_Z56ncclDevFunc_AllReduce_RING_SIMPLE_PreMulSum_f8e4m3_1_0_2v
	.hidden	_Z56ncclDevFunc_AllReduce_RING_SIMPLE_PreMulSum_f8e5m2_0_0_2v
	.hidden	_Z56ncclDevFunc_AllReduce_RING_SIMPLE_PreMulSum_f8e5m2_1_0_2v
	.hidden	_Z53ncclDevFunc_AllReduce_RING_SIMPLE_SumPostDiv_u8_0_0_2v
	.hidden	_Z53ncclDevFunc_AllReduce_RING_SIMPLE_SumPostDiv_u8_1_0_2v
	.hidden	_Z54ncclDevFunc_AllReduce_RING_SIMPLE_SumPostDiv_u32_0_0_2v
	.hidden	_Z54ncclDevFunc_AllReduce_RING_SIMPLE_SumPostDiv_u32_1_0_2v
	.hidden	_Z54ncclDevFunc_AllReduce_RING_SIMPLE_SumPostDiv_u64_0_0_2v
	.hidden	_Z54ncclDevFunc_AllReduce_RING_SIMPLE_SumPostDiv_u64_1_0_2v
	.hidden	_Z45ncclDevFunc_SendRecv_RING_SIMPLE_Sum_i8_0_0_2v
	.hidden	_Z50ncclDevFunc_AlltoAllPivot_RING_SIMPLE_Sum_i8_0_0_2v
	.hidden	_Z42ncclDevFunc_Broadcast_RING_LL_Sum_i8_0_0_4v
	.hidden	_Z46ncclDevFunc_Broadcast_RING_SIMPLE_Sum_i8_0_0_4v
	.hidden	_Z43ncclDevFunc_Reduce_RING_SIMPLE_Sum_u8_0_0_4v
	.hidden	_Z44ncclDevFunc_Reduce_RING_SIMPLE_Sum_u32_0_0_4v
	.hidden	_Z44ncclDevFunc_Reduce_RING_SIMPLE_Sum_u64_0_0_4v
	.hidden	_Z44ncclDevFunc_Reduce_RING_SIMPLE_Sum_f16_0_0_4v
	.hidden	_Z44ncclDevFunc_Reduce_RING_SIMPLE_Sum_f32_0_0_4v
	.hidden	_Z44ncclDevFunc_Reduce_RING_SIMPLE_Sum_f64_0_0_4v
	.hidden	_Z45ncclDevFunc_Reduce_RING_SIMPLE_Sum_bf16_0_0_4v
	.hidden	_Z45ncclDevFunc_Reduce_RING_SIMPLE_Sum_bf16_0_1_4v
	.hidden	_Z47ncclDevFunc_Reduce_RING_SIMPLE_Sum_f8e4m3_0_0_4v
	.hidden	_Z47ncclDevFunc_Reduce_RING_SIMPLE_Sum_f8e5m2_0_0_4v
	.hidden	_Z44ncclDevFunc_Reduce_RING_SIMPLE_Prod_u8_0_0_4v
	.hidden	_Z45ncclDevFunc_Reduce_RING_SIMPLE_Prod_u32_0_0_4v
	.hidden	_Z45ncclDevFunc_Reduce_RING_SIMPLE_Prod_u64_0_0_4v
	.hidden	_Z45ncclDevFunc_Reduce_RING_SIMPLE_Prod_f16_0_0_4v
	.hidden	_Z45ncclDevFunc_Reduce_RING_SIMPLE_Prod_f32_0_0_4v
	.hidden	_Z45ncclDevFunc_Reduce_RING_SIMPLE_Prod_f64_0_0_4v
	.hidden	_Z46ncclDevFunc_Reduce_RING_SIMPLE_Prod_bf16_0_0_4v
	.hidden	_Z46ncclDevFunc_Reduce_RING_SIMPLE_Prod_bf16_0_1_4v
	.hidden	_Z48ncclDevFunc_Reduce_RING_SIMPLE_Prod_f8e4m3_0_0_4v
	.hidden	_Z48ncclDevFunc_Reduce_RING_SIMPLE_Prod_f8e5m2_0_0_4v
	.hidden	_Z46ncclDevFunc_Reduce_RING_SIMPLE_MinMax_u8_0_0_4v
	.hidden	_Z47ncclDevFunc_Reduce_RING_SIMPLE_MinMax_u32_0_0_4v
	.hidden	_Z47ncclDevFunc_Reduce_RING_SIMPLE_MinMax_u64_0_0_4v
	.hidden	_Z47ncclDevFunc_Reduce_RING_SIMPLE_MinMax_f16_0_0_4v
	.hidden	_Z47ncclDevFunc_Reduce_RING_SIMPLE_MinMax_f32_0_0_4v
	.hidden	_Z47ncclDevFunc_Reduce_RING_SIMPLE_MinMax_f64_0_0_4v
	.hidden	_Z48ncclDevFunc_Reduce_RING_SIMPLE_MinMax_bf16_0_0_4v
	.hidden	_Z48ncclDevFunc_Reduce_RING_SIMPLE_MinMax_bf16_0_1_4v
	.hidden	_Z50ncclDevFunc_Reduce_RING_SIMPLE_MinMax_f8e4m3_0_0_4v
	.hidden	_Z50ncclDevFunc_Reduce_RING_SIMPLE_MinMax_f8e5m2_0_0_4v
	.hidden	_Z49ncclDevFunc_Reduce_RING_SIMPLE_PreMulSum_u8_0_0_4v
	.hidden	_Z50ncclDevFunc_Reduce_RING_SIMPLE_PreMulSum_u32_0_0_4v
	.hidden	_Z50ncclDevFunc_Reduce_RING_SIMPLE_PreMulSum_u64_0_0_4v
	.hidden	_Z50ncclDevFunc_Reduce_RING_SIMPLE_PreMulSum_f16_0_0_4v
	.hidden	_Z50ncclDevFunc_Reduce_RING_SIMPLE_PreMulSum_f32_0_0_4v
	.hidden	_Z50ncclDevFunc_Reduce_RING_SIMPLE_PreMulSum_f64_0_0_4v
	.hidden	_Z51ncclDevFunc_Reduce_RING_SIMPLE_PreMulSum_bf16_0_0_4v
	.hidden	_Z51ncclDevFunc_Reduce_RING_SIMPLE_PreMulSum_bf16_0_1_4v
	.hidden	_Z53ncclDevFunc_Reduce_RING_SIMPLE_PreMulSum_f8e4m3_0_0_4v
	.hidden	_Z53ncclDevFunc_Reduce_RING_SIMPLE_PreMulSum_f8e5m2_0_0_4v
	.hidden	_Z50ncclDevFunc_Reduce_RING_SIMPLE_SumPostDiv_u8_0_0_4v
	.hidden	_Z51ncclDevFunc_Reduce_RING_SIMPLE_SumPostDiv_u32_0_0_4v
	.hidden	_Z51ncclDevFunc_Reduce_RING_SIMPLE_SumPostDiv_u64_0_0_4v
	.hidden	_Z42ncclDevFunc_AllGather_RING_LL_Sum_i8_0_0_4v
	.hidden	_Z46ncclDevFunc_AllGather_RING_SIMPLE_Sum_i8_0_0_4v
	.hidden	_Z41ncclDevFunc_AllGather_PAT_LL_Sum_i8_0_0_4v
	.hidden	_Z45ncclDevFunc_AllGather_PAT_SIMPLE_Sum_i8_0_0_4v
	.hidden	_Z46ncclDevFunc_ReduceScatter_RING_LL_Sum_u8_0_0_4v
	.hidden	_Z47ncclDevFunc_ReduceScatter_RING_LL_Sum_u32_0_0_4v
	.hidden	_Z47ncclDevFunc_ReduceScatter_RING_LL_Sum_u64_0_0_4v
	.hidden	_Z47ncclDevFunc_ReduceScatter_RING_LL_Sum_f16_0_0_4v
	.hidden	_Z47ncclDevFunc_ReduceScatter_RING_LL_Sum_f32_0_0_4v
	.hidden	_Z47ncclDevFunc_ReduceScatter_RING_LL_Sum_f64_0_0_4v
	.hidden	_Z48ncclDevFunc_ReduceScatter_RING_LL_Sum_bf16_0_0_4v
	.hidden	_Z50ncclDevFunc_ReduceScatter_RING_LL_Sum_f8e4m3_0_0_4v
	.hidden	_Z50ncclDevFunc_ReduceScatter_RING_LL_Sum_f8e5m2_0_0_4v
	.hidden	_Z47ncclDevFunc_ReduceScatter_RING_LL_Prod_u8_0_0_4v
	.hidden	_Z48ncclDevFunc_ReduceScatter_RING_LL_Prod_u32_0_0_4v
	.hidden	_Z48ncclDevFunc_ReduceScatter_RING_LL_Prod_u64_0_0_4v
	.hidden	_Z48ncclDevFunc_ReduceScatter_RING_LL_Prod_f16_0_0_4v
	.hidden	_Z48ncclDevFunc_ReduceScatter_RING_LL_Prod_f32_0_0_4v
	.hidden	_Z48ncclDevFunc_ReduceScatter_RING_LL_Prod_f64_0_0_4v
	.hidden	_Z49ncclDevFunc_ReduceScatter_RING_LL_Prod_bf16_0_0_4v
	.hidden	_Z51ncclDevFunc_ReduceScatter_RING_LL_Prod_f8e4m3_0_0_4v
	.hidden	_Z51ncclDevFunc_ReduceScatter_RING_LL_Prod_f8e5m2_0_0_4v
	.hidden	_Z49ncclDevFunc_ReduceScatter_RING_LL_MinMax_u8_0_0_4v
	.hidden	_Z50ncclDevFunc_ReduceScatter_RING_LL_MinMax_u32_0_0_4v
	.hidden	_Z50ncclDevFunc_ReduceScatter_RING_LL_MinMax_u64_0_0_4v
	.hidden	_Z50ncclDevFunc_ReduceScatter_RING_LL_MinMax_f16_0_0_4v
	.hidden	_Z50ncclDevFunc_ReduceScatter_RING_LL_MinMax_f32_0_0_4v
	.hidden	_Z50ncclDevFunc_ReduceScatter_RING_LL_MinMax_f64_0_0_4v
	.hidden	_Z51ncclDevFunc_ReduceScatter_RING_LL_MinMax_bf16_0_0_4v
	.hidden	_Z53ncclDevFunc_ReduceScatter_RING_LL_MinMax_f8e4m3_0_0_4v
	.hidden	_Z53ncclDevFunc_ReduceScatter_RING_LL_MinMax_f8e5m2_0_0_4v
	.hidden	_Z52ncclDevFunc_ReduceScatter_RING_LL_PreMulSum_u8_0_0_4v
	.hidden	_Z53ncclDevFunc_ReduceScatter_RING_LL_PreMulSum_u32_0_0_4v
	.hidden	_Z53ncclDevFunc_ReduceScatter_RING_LL_PreMulSum_u64_0_0_4v
	.hidden	_Z53ncclDevFunc_ReduceScatter_RING_LL_PreMulSum_f16_0_0_4v
	.hidden	_Z53ncclDevFunc_ReduceScatter_RING_LL_PreMulSum_f32_0_0_4v
	.hidden	_Z53ncclDevFunc_ReduceScatter_RING_LL_PreMulSum_f64_0_0_4v
	.hidden	_Z54ncclDevFunc_ReduceScatter_RING_LL_PreMulSum_bf16_0_0_4v
	.hidden	_Z56ncclDevFunc_ReduceScatter_RING_LL_PreMulSum_f8e4m3_0_0_4v
	.hidden	_Z56ncclDevFunc_ReduceScatter_RING_LL_PreMulSum_f8e5m2_0_0_4v
	.hidden	_Z53ncclDevFunc_ReduceScatter_RING_LL_SumPostDiv_u8_0_0_4v
	.hidden	_Z54ncclDevFunc_ReduceScatter_RING_LL_SumPostDiv_u32_0_0_4v
	.hidden	_Z54ncclDevFunc_ReduceScatter_RING_LL_SumPostDiv_u64_0_0_4v
	.hidden	_Z46ncclDevFunc_AllReduce_RING_SIMPLE_Sum_u8_0_0_4v
	.hidden	_Z46ncclDevFunc_AllReduce_RING_SIMPLE_Sum_u8_1_0_4v
	.hidden	_Z47ncclDevFunc_AllReduce_RING_SIMPLE_Sum_u32_0_0_4v
	.hidden	_Z47ncclDevFunc_AllReduce_RING_SIMPLE_Sum_u32_1_0_4v
	.hidden	_Z47ncclDevFunc_AllReduce_RING_SIMPLE_Sum_u64_0_0_4v
	.hidden	_Z47ncclDevFunc_AllReduce_RING_SIMPLE_Sum_u64_1_0_4v
	.hidden	_Z47ncclDevFunc_AllReduce_RING_SIMPLE_Sum_f16_0_0_4v
	.hidden	_Z47ncclDevFunc_AllReduce_RING_SIMPLE_Sum_f16_1_0_4v
	.hidden	_Z47ncclDevFunc_AllReduce_RING_SIMPLE_Sum_f32_0_0_4v
	.hidden	_Z47ncclDevFunc_AllReduce_RING_SIMPLE_Sum_f32_1_0_4v
	.hidden	_Z47ncclDevFunc_AllReduce_RING_SIMPLE_Sum_f64_0_0_4v
	.hidden	_Z47ncclDevFunc_AllReduce_RING_SIMPLE_Sum_f64_1_0_4v
	.hidden	_Z48ncclDevFunc_AllReduce_RING_SIMPLE_Sum_bf16_0_0_4v
	.hidden	_Z48ncclDevFunc_AllReduce_RING_SIMPLE_Sum_bf16_0_1_4v
	.hidden	_Z48ncclDevFunc_AllReduce_RING_SIMPLE_Sum_bf16_1_0_4v
	.hidden	_Z48ncclDevFunc_AllReduce_RING_SIMPLE_Sum_bf16_1_1_4v
	.hidden	_Z50ncclDevFunc_AllReduce_RING_SIMPLE_Sum_f8e4m3_0_0_4v
	.hidden	_Z50ncclDevFunc_AllReduce_RING_SIMPLE_Sum_f8e4m3_1_0_4v
	.hidden	_Z50ncclDevFunc_AllReduce_RING_SIMPLE_Sum_f8e5m2_0_0_4v
	.hidden	_Z50ncclDevFunc_AllReduce_RING_SIMPLE_Sum_f8e5m2_1_0_4v
	.hidden	_Z47ncclDevFunc_AllReduce_RING_SIMPLE_Prod_u8_0_0_4v
	.hidden	_Z47ncclDevFunc_AllReduce_RING_SIMPLE_Prod_u8_1_0_4v
	.hidden	_Z48ncclDevFunc_AllReduce_RING_SIMPLE_Prod_u32_0_0_4v
	.hidden	_Z48ncclDevFunc_AllReduce_RING_SIMPLE_Prod_u32_1_0_4v
	.hidden	_Z48ncclDevFunc_AllReduce_RING_SIMPLE_Prod_u64_0_0_4v
	.hidden	_Z48ncclDevFunc_AllReduce_RING_SIMPLE_Prod_u64_1_0_4v
	.hidden	_Z48ncclDevFunc_AllReduce_RING_SIMPLE_Prod_f16_0_0_4v
	.hidden	_Z48ncclDevFunc_AllReduce_RING_SIMPLE_Prod_f16_1_0_4v
	.hidden	_Z48ncclDevFunc_AllReduce_RING_SIMPLE_Prod_f32_0_0_4v
	.hidden	_Z48ncclDevFunc_AllReduce_RING_SIMPLE_Prod_f32_1_0_4v
	.hidden	_Z48ncclDevFunc_AllReduce_RING_SIMPLE_Prod_f64_0_0_4v
	.hidden	_Z48ncclDevFunc_AllReduce_RING_SIMPLE_Prod_f64_1_0_4v
	.hidden	_Z49ncclDevFunc_AllReduce_RING_SIMPLE_Prod_bf16_0_0_4v
	.hidden	_Z49ncclDevFunc_AllReduce_RING_SIMPLE_Prod_bf16_0_1_4v
	.hidden	_Z49ncclDevFunc_AllReduce_RING_SIMPLE_Prod_bf16_1_0_4v
	.hidden	_Z49ncclDevFunc_AllReduce_RING_SIMPLE_Prod_bf16_1_1_4v
	.hidden	_Z51ncclDevFunc_AllReduce_RING_SIMPLE_Prod_f8e4m3_0_0_4v
	.hidden	_Z51ncclDevFunc_AllReduce_RING_SIMPLE_Prod_f8e4m3_1_0_4v
	.hidden	_Z51ncclDevFunc_AllReduce_RING_SIMPLE_Prod_f8e5m2_0_0_4v
	.hidden	_Z51ncclDevFunc_AllReduce_RING_SIMPLE_Prod_f8e5m2_1_0_4v
	.hidden	_Z49ncclDevFunc_AllReduce_RING_SIMPLE_MinMax_u8_0_0_4v
	.hidden	_Z49ncclDevFunc_AllReduce_RING_SIMPLE_MinMax_u8_1_0_4v
	.hidden	_Z50ncclDevFunc_AllReduce_RING_SIMPLE_MinMax_u32_0_0_4v
	.hidden	_Z50ncclDevFunc_AllReduce_RING_SIMPLE_MinMax_u32_1_0_4v
	.hidden	_Z50ncclDevFunc_AllReduce_RING_SIMPLE_MinMax_u64_0_0_4v
	.hidden	_Z50ncclDevFunc_AllReduce_RING_SIMPLE_MinMax_u64_1_0_4v
	.hidden	_Z50ncclDevFunc_AllReduce_RING_SIMPLE_MinMax_f16_0_0_4v
	.hidden	_Z50ncclDevFunc_AllReduce_RING_SIMPLE_MinMax_f16_1_0_4v
	.hidden	_Z50ncclDevFunc_AllReduce_RING_SIMPLE_MinMax_f32_0_0_4v
	.hidden	_Z50ncclDevFunc_AllReduce_RING_SIMPLE_MinMax_f32_1_0_4v
	.hidden	_Z50ncclDevFunc_AllReduce_RING_SIMPLE_MinMax_f64_0_0_4v
	.hidden	_Z50ncclDevFunc_AllReduce_RING_SIMPLE_MinMax_f64_1_0_4v
	.hidden	_Z51ncclDevFunc_AllReduce_RING_SIMPLE_MinMax_bf16_0_0_4v
	.hidden	_Z51ncclDevFunc_AllReduce_RING_SIMPLE_MinMax_bf16_0_1_4v
	.hidden	_Z51ncclDevFunc_AllReduce_RING_SIMPLE_MinMax_bf16_1_0_4v
	.hidden	_Z51ncclDevFunc_AllReduce_RING_SIMPLE_MinMax_bf16_1_1_4v
	.hidden	_Z53ncclDevFunc_AllReduce_RING_SIMPLE_MinMax_f8e4m3_0_0_4v
	.hidden	_Z53ncclDevFunc_AllReduce_RING_SIMPLE_MinMax_f8e4m3_1_0_4v
	.hidden	_Z53ncclDevFunc_AllReduce_RING_SIMPLE_MinMax_f8e5m2_0_0_4v
	.hidden	_Z53ncclDevFunc_AllReduce_RING_SIMPLE_MinMax_f8e5m2_1_0_4v
	.hidden	_Z52ncclDevFunc_AllReduce_RING_SIMPLE_PreMulSum_u8_0_0_4v
	.hidden	_Z52ncclDevFunc_AllReduce_RING_SIMPLE_PreMulSum_u8_1_0_4v
	.hidden	_Z53ncclDevFunc_AllReduce_RING_SIMPLE_PreMulSum_u32_0_0_4v
	.hidden	_Z53ncclDevFunc_AllReduce_RING_SIMPLE_PreMulSum_u32_1_0_4v
	.hidden	_Z53ncclDevFunc_AllReduce_RING_SIMPLE_PreMulSum_u64_0_0_4v
	.hidden	_Z53ncclDevFunc_AllReduce_RING_SIMPLE_PreMulSum_u64_1_0_4v
	.hidden	_Z53ncclDevFunc_AllReduce_RING_SIMPLE_PreMulSum_f16_0_0_4v
	.hidden	_Z53ncclDevFunc_AllReduce_RING_SIMPLE_PreMulSum_f16_1_0_4v
	.hidden	_Z53ncclDevFunc_AllReduce_RING_SIMPLE_PreMulSum_f32_0_0_4v
	.hidden	_Z53ncclDevFunc_AllReduce_RING_SIMPLE_PreMulSum_f32_1_0_4v
	.hidden	_Z53ncclDevFunc_AllReduce_RING_SIMPLE_PreMulSum_f64_0_0_4v
	.hidden	_Z53ncclDevFunc_AllReduce_RING_SIMPLE_PreMulSum_f64_1_0_4v
	.hidden	_Z54ncclDevFunc_AllReduce_RING_SIMPLE_PreMulSum_bf16_0_0_4v
	.hidden	_Z54ncclDevFunc_AllReduce_RING_SIMPLE_PreMulSum_bf16_0_1_4v
	.hidden	_Z54ncclDevFunc_AllReduce_RING_SIMPLE_PreMulSum_bf16_1_0_4v
	.hidden	_Z54ncclDevFunc_AllReduce_RING_SIMPLE_PreMulSum_bf16_1_1_4v
	.hidden	_Z56ncclDevFunc_AllReduce_RING_SIMPLE_PreMulSum_f8e4m3_0_0_4v
	.hidden	_Z56ncclDevFunc_AllReduce_RING_SIMPLE_PreMulSum_f8e4m3_1_0_4v
	.hidden	_Z56ncclDevFunc_AllReduce_RING_SIMPLE_PreMulSum_f8e5m2_0_0_4v
	.hidden	_Z56ncclDevFunc_AllReduce_RING_SIMPLE_PreMulSum_f8e5m2_1_0_4v
	.hidden	_Z53ncclDevFunc_AllReduce_RING_SIMPLE_SumPostDiv_u8_0_0_4v
	.hidden	_Z53ncclDevFunc_AllReduce_RING_SIMPLE_SumPostDiv_u8_1_0_4v
	.hidden	_Z54ncclDevFunc_AllReduce_RING_SIMPLE_SumPostDiv_u32_0_0_4v
	.hidden	_Z54ncclDevFunc_AllReduce_RING_SIMPLE_SumPostDiv_u32_1_0_4v
	.hidden	_Z54ncclDevFunc_AllReduce_RING_SIMPLE_SumPostDiv_u64_0_0_4v
	.hidden	_Z54ncclDevFunc_AllReduce_RING_SIMPLE_SumPostDiv_u64_1_0_4v
	.hidden	_Z45ncclDevFunc_SendRecv_RING_SIMPLE_Sum_i8_0_0_4v
	.hidden	_Z50ncclDevFunc_AlltoAllPivot_RING_SIMPLE_Sum_i8_0_0_4v
	.ident	"AMD clang version 22.0.0git (https://github.com/RadeonOpenCompute/llvm-project roc-7.2.4 26084 f58b06dce1f9c15707c5f808fd002e18c2accf7e)"
	.section	".note.GNU-stack","",@progbits
	.addrsig
	.addrsig_sym __hip_cuid_953e76370154a24e
	.amdgpu_metadata
---
amdhsa.kernels:
  - .agpr_count:     0
    .args:
      - .offset:         0
        .size:           4096
        .value_kind:     by_value
      - .offset:         4096
        .size:           4
        .value_kind:     hidden_block_count_x
      - .offset:         4100
        .size:           4
        .value_kind:     hidden_block_count_y
      - .offset:         4104
        .size:           4
        .value_kind:     hidden_block_count_z
      - .offset:         4108
        .size:           2
        .value_kind:     hidden_group_size_x
      - .offset:         4110
        .size:           2
        .value_kind:     hidden_group_size_y
      - .offset:         4112
        .size:           2
        .value_kind:     hidden_group_size_z
      - .offset:         4114
        .size:           2
        .value_kind:     hidden_remainder_x
      - .offset:         4116
        .size:           2
        .value_kind:     hidden_remainder_y
      - .offset:         4118
        .size:           2
        .value_kind:     hidden_remainder_z
      - .offset:         4136
        .size:           8
        .value_kind:     hidden_global_offset_x
      - .offset:         4144
        .size:           8
        .value_kind:     hidden_global_offset_y
      - .offset:         4152
        .size:           8
        .value_kind:     hidden_global_offset_z
      - .offset:         4160
        .size:           2
        .value_kind:     hidden_grid_dims
      - .offset:         4176
        .size:           8
        .value_kind:     hidden_hostcall_buffer
      - .offset:         4184
        .size:           8
        .value_kind:     hidden_multigrid_sync_arg
      - .offset:         4192
        .size:           8
        .value_kind:     hidden_heap_v1
      - .offset:         4200
        .size:           8
        .value_kind:     hidden_default_queue
      - .offset:         4208
        .size:           8
        .value_kind:     hidden_completion_action
      - .offset:         4296
        .size:           8
        .value_kind:     hidden_queue_ptr
    .group_segment_fixed_size: 37600
    .kernarg_segment_align: 16
    .kernarg_segment_size: 4352
    .language:       OpenCL C
    .language_version:
      - 2
      - 0
    .max_flat_workgroup_size: 512
    .name:           _Z23ncclDevKernel_Generic_124ncclDevKernelArgsStorageILm4096EE
    .private_segment_fixed_size: 0
    .sgpr_count:     88
    .sgpr_spill_count: 0
    .symbol:         _Z23ncclDevKernel_Generic_124ncclDevKernelArgsStorageILm4096EE.kd
    .uniform_work_group_size: 1
    .uses_dynamic_stack: true
    .vgpr_count:     60
    .vgpr_spill_count: 0
    .wavefront_size: 64
  - .agpr_count:     0
    .args:
      - .offset:         0
        .size:           4096
        .value_kind:     by_value
      - .offset:         4096
        .size:           4
        .value_kind:     hidden_block_count_x
      - .offset:         4100
        .size:           4
        .value_kind:     hidden_block_count_y
      - .offset:         4104
        .size:           4
        .value_kind:     hidden_block_count_z
      - .offset:         4108
        .size:           2
        .value_kind:     hidden_group_size_x
      - .offset:         4110
        .size:           2
        .value_kind:     hidden_group_size_y
      - .offset:         4112
        .size:           2
        .value_kind:     hidden_group_size_z
      - .offset:         4114
        .size:           2
        .value_kind:     hidden_remainder_x
      - .offset:         4116
        .size:           2
        .value_kind:     hidden_remainder_y
      - .offset:         4118
        .size:           2
        .value_kind:     hidden_remainder_z
      - .offset:         4136
        .size:           8
        .value_kind:     hidden_global_offset_x
      - .offset:         4144
        .size:           8
        .value_kind:     hidden_global_offset_y
      - .offset:         4152
        .size:           8
        .value_kind:     hidden_global_offset_z
      - .offset:         4160
        .size:           2
        .value_kind:     hidden_grid_dims
      - .offset:         4176
        .size:           8
        .value_kind:     hidden_hostcall_buffer
      - .offset:         4184
        .size:           8
        .value_kind:     hidden_multigrid_sync_arg
      - .offset:         4192
        .size:           8
        .value_kind:     hidden_heap_v1
      - .offset:         4200
        .size:           8
        .value_kind:     hidden_default_queue
      - .offset:         4208
        .size:           8
        .value_kind:     hidden_completion_action
      - .offset:         4296
        .size:           8
        .value_kind:     hidden_queue_ptr
    .group_segment_fixed_size: 37600
    .kernarg_segment_align: 16
    .kernarg_segment_size: 4352
    .language:       OpenCL C
    .language_version:
      - 2
      - 0
    .max_flat_workgroup_size: 512
    .name:           _Z23ncclDevKernel_Generic_224ncclDevKernelArgsStorageILm4096EE
    .private_segment_fixed_size: 0
    .sgpr_count:     88
    .sgpr_spill_count: 0
    .symbol:         _Z23ncclDevKernel_Generic_224ncclDevKernelArgsStorageILm4096EE.kd
    .uniform_work_group_size: 1
    .uses_dynamic_stack: true
    .vgpr_count:     60
    .vgpr_spill_count: 0
    .wavefront_size: 64
  - .agpr_count:     0
    .args:
      - .offset:         0
        .size:           4096
        .value_kind:     by_value
      - .offset:         4096
        .size:           4
        .value_kind:     hidden_block_count_x
      - .offset:         4100
        .size:           4
        .value_kind:     hidden_block_count_y
      - .offset:         4104
        .size:           4
        .value_kind:     hidden_block_count_z
      - .offset:         4108
        .size:           2
        .value_kind:     hidden_group_size_x
      - .offset:         4110
        .size:           2
        .value_kind:     hidden_group_size_y
      - .offset:         4112
        .size:           2
        .value_kind:     hidden_group_size_z
      - .offset:         4114
        .size:           2
        .value_kind:     hidden_remainder_x
      - .offset:         4116
        .size:           2
        .value_kind:     hidden_remainder_y
      - .offset:         4118
        .size:           2
        .value_kind:     hidden_remainder_z
      - .offset:         4136
        .size:           8
        .value_kind:     hidden_global_offset_x
      - .offset:         4144
        .size:           8
        .value_kind:     hidden_global_offset_y
      - .offset:         4152
        .size:           8
        .value_kind:     hidden_global_offset_z
      - .offset:         4160
        .size:           2
        .value_kind:     hidden_grid_dims
      - .offset:         4176
        .size:           8
        .value_kind:     hidden_hostcall_buffer
      - .offset:         4184
        .size:           8
        .value_kind:     hidden_multigrid_sync_arg
      - .offset:         4192
        .size:           8
        .value_kind:     hidden_heap_v1
      - .offset:         4200
        .size:           8
        .value_kind:     hidden_default_queue
      - .offset:         4208
        .size:           8
        .value_kind:     hidden_completion_action
      - .offset:         4296
        .size:           8
        .value_kind:     hidden_queue_ptr
    .group_segment_fixed_size: 37600
    .kernarg_segment_align: 16
    .kernarg_segment_size: 4352
    .language:       OpenCL C
    .language_version:
      - 2
      - 0
    .max_flat_workgroup_size: 512
    .name:           _Z23ncclDevKernel_Generic_424ncclDevKernelArgsStorageILm4096EE
    .private_segment_fixed_size: 0
    .sgpr_count:     88
    .sgpr_spill_count: 0
    .symbol:         _Z23ncclDevKernel_Generic_424ncclDevKernelArgsStorageILm4096EE.kd
    .uniform_work_group_size: 1
    .uses_dynamic_stack: true
    .vgpr_count:     60
    .vgpr_spill_count: 0
    .wavefront_size: 64
amdhsa.target:   amdgcn-amd-amdhsa--gfx950
amdhsa.version:
  - 1
  - 2
...

	.end_amdgpu_metadata
